;; amdgpu-corpus repo=ROCm/rocFFT kind=compiled arch=gfx950 opt=O3
	.text
	.amdgcn_target "amdgcn-amd-amdhsa--gfx950"
	.amdhsa_code_object_version 6
	.protected	bluestein_single_back_len440_dim1_sp_op_CI_CI ; -- Begin function bluestein_single_back_len440_dim1_sp_op_CI_CI
	.globl	bluestein_single_back_len440_dim1_sp_op_CI_CI
	.p2align	8
	.type	bluestein_single_back_len440_dim1_sp_op_CI_CI,@function
bluestein_single_back_len440_dim1_sp_op_CI_CI: ; @bluestein_single_back_len440_dim1_sp_op_CI_CI
; %bb.0:
	s_load_dwordx4 s[8:11], s[0:1], 0x28
	v_mul_u32_u24_e32 v1, 0x4a8, v0
	v_mov_b32_e32 v49, 0
	v_add_u32_sdwa v50, s2, v1 dst_sel:DWORD dst_unused:UNUSED_PAD src0_sel:DWORD src1_sel:WORD_1
	v_mov_b32_e32 v51, v49
	s_waitcnt lgkmcnt(0)
	v_cmp_gt_u64_e32 vcc, s[8:9], v[50:51]
	s_and_saveexec_b64 s[2:3], vcc
	s_cbranch_execz .LBB0_25
; %bb.1:
	s_load_dwordx2 s[8:9], s[0:1], 0x0
	s_load_dwordx2 s[12:13], s[0:1], 0x38
	v_mov_b32_e32 v2, 55
	v_mul_lo_u16_sdwa v1, v1, v2 dst_sel:DWORD dst_unused:UNUSED_PAD src0_sel:WORD_1 src1_sel:DWORD
	v_sub_u16_e32 v48, v0, v1
	v_cmp_gt_u16_e32 vcc, 40, v48
	v_lshlrev_b32_e32 v51, 3, v48
	s_and_saveexec_b64 s[2:3], vcc
	s_cbranch_execz .LBB0_3
; %bb.2:
	s_load_dwordx2 s[4:5], s[0:1], 0x18
	v_mov_b32_e32 v0, s10
	v_mov_b32_e32 v1, s11
	;; [unrolled: 1-line block ×3, first 2 shown]
	v_or_b32_e32 v39, 0x140, v48
	s_waitcnt lgkmcnt(0)
	s_load_dwordx4 s[4:7], s[4:5], 0x0
	s_waitcnt lgkmcnt(0)
	v_mad_u64_u32 v[2:3], s[10:11], s6, v50, 0
	v_mad_u64_u32 v[4:5], s[10:11], s4, v48, 0
	v_mov_b32_e32 v6, v3
	v_mov_b32_e32 v8, v5
	v_mad_u64_u32 v[6:7], s[6:7], s7, v50, v[6:7]
	v_mov_b32_e32 v3, v6
	v_mad_u64_u32 v[6:7], s[6:7], s5, v48, v[8:9]
	v_mov_b32_e32 v5, v6
	v_lshl_add_u64 v[0:1], v[2:3], 3, v[0:1]
	v_lshl_add_u64 v[2:3], v[4:5], 3, v[0:1]
	global_load_dwordx2 v[4:5], v[2:3], off
	v_mad_u64_u32 v[2:3], s[6:7], s4, v42, v[2:3]
	s_mul_i32 s10, s5, 0x140
	v_add_u32_e32 v3, s10, v3
	v_mad_u64_u32 v[6:7], s[6:7], s4, v42, v[2:3]
	v_add_u32_e32 v7, s10, v7
	v_mad_u64_u32 v[8:9], s[6:7], s4, v42, v[6:7]
	v_add_u32_e32 v9, s10, v9
	v_mad_u64_u32 v[18:19], s[6:7], s4, v42, v[8:9]
	v_add_u32_e32 v19, s10, v19
	global_load_dwordx2 v[10:11], v51, s[8:9]
	global_load_dwordx2 v[12:13], v51, s[8:9] offset:320
	global_load_dwordx2 v[14:15], v51, s[8:9] offset:640
	;; [unrolled: 1-line block ×3, first 2 shown]
	v_mad_u64_u32 v[36:37], s[6:7], s4, v39, 0
	global_load_dwordx2 v[2:3], v[2:3], off
	s_nop 0
	global_load_dwordx2 v[20:21], v[6:7], off
	global_load_dwordx2 v[22:23], v[8:9], off
	global_load_dwordx2 v[24:25], v[18:19], off
	v_mad_u64_u32 v[6:7], s[6:7], s4, v42, v[18:19]
	v_add_u32_e32 v7, s10, v7
	global_load_dwordx2 v[8:9], v[6:7], off
	v_mad_u64_u32 v[6:7], s[6:7], s4, v42, v[6:7]
	v_add_u32_e32 v7, s10, v7
	global_load_dwordx2 v[18:19], v[6:7], off
	global_load_dwordx2 v[26:27], v51, s[8:9] offset:1280
	v_mad_u64_u32 v[6:7], s[6:7], s4, v42, v[6:7]
	v_mov_b32_e32 v38, v37
	v_add_u32_e32 v7, s10, v7
	v_mad_u64_u32 v[38:39], s[6:7], s5, v39, v[38:39]
	global_load_dwordx2 v[28:29], v[6:7], off
	global_load_dwordx2 v[30:31], v51, s[8:9] offset:1600
	global_load_dwordx2 v[32:33], v51, s[8:9] offset:1920
	;; [unrolled: 1-line block ×3, first 2 shown]
	v_mov_b32_e32 v37, v38
	v_lshl_add_u64 v[0:1], v[36:37], 3, v[0:1]
	v_mov_b32_e32 v36, 0x280
	global_load_dwordx2 v[0:1], v[0:1], off
	v_mad_u64_u32 v[6:7], s[6:7], s4, v36, v[6:7]
	global_load_dwordx2 v[36:37], v51, s[8:9] offset:2560
	s_mulk_i32 s5, 0x280
	v_add_u32_e32 v7, s5, v7
	global_load_dwordx2 v[38:39], v[6:7], off
	global_load_dwordx2 v[40:41], v51, s[8:9] offset:2880
	v_mad_u64_u32 v[6:7], s[4:5], s4, v42, v[6:7]
	v_add_u32_e32 v7, s10, v7
	global_load_dwordx2 v[42:43], v51, s[8:9] offset:3200
	global_load_dwordx2 v[44:45], v[6:7], off
	s_waitcnt vmcnt(20)
	v_mul_f32_e32 v6, v5, v11
	v_mul_f32_e32 v7, v4, v11
	v_fmac_f32_e32 v6, v4, v10
	v_fma_f32 v7, v5, v10, -v7
	s_waitcnt vmcnt(16)
	v_mul_f32_e32 v4, v3, v13
	v_mul_f32_e32 v5, v2, v13
	v_fmac_f32_e32 v4, v2, v12
	v_fma_f32 v5, v3, v12, -v5
	ds_write2_b64 v51, v[6:7], v[4:5] offset1:40
	s_waitcnt vmcnt(15)
	v_mul_f32_e32 v2, v21, v15
	v_mul_f32_e32 v3, v20, v15
	s_waitcnt vmcnt(14)
	v_mul_f32_e32 v4, v23, v17
	v_mul_f32_e32 v5, v22, v17
	v_fmac_f32_e32 v2, v20, v14
	v_fma_f32 v3, v21, v14, -v3
	v_fmac_f32_e32 v4, v22, v16
	v_fma_f32 v5, v23, v16, -v5
	ds_write2_b64 v51, v[2:3], v[4:5] offset0:80 offset1:120
	s_waitcnt vmcnt(10)
	v_mul_f32_e32 v2, v25, v27
	v_mul_f32_e32 v3, v24, v27
	s_waitcnt vmcnt(8)
	v_mul_f32_e32 v4, v9, v31
	v_mul_f32_e32 v5, v8, v31
	v_fmac_f32_e32 v2, v24, v26
	v_fma_f32 v3, v25, v26, -v3
	v_fmac_f32_e32 v4, v8, v30
	v_fma_f32 v5, v9, v30, -v5
	ds_write2_b64 v51, v[2:3], v[4:5] offset0:160 offset1:200
	s_waitcnt vmcnt(7)
	v_mul_f32_e32 v2, v19, v33
	v_mul_f32_e32 v3, v18, v33
	s_waitcnt vmcnt(6)
	v_mul_f32_e32 v4, v29, v35
	v_mul_f32_e32 v5, v28, v35
	v_fmac_f32_e32 v2, v18, v32
	v_fma_f32 v3, v19, v32, -v3
	v_fmac_f32_e32 v4, v28, v34
	v_fma_f32 v5, v29, v34, -v5
	v_add_u32_e32 v6, 0x400, v51
	ds_write2_b64 v6, v[2:3], v[4:5] offset0:112 offset1:152
	s_waitcnt vmcnt(4)
	v_mul_f32_e32 v2, v1, v37
	v_fmac_f32_e32 v2, v0, v36
	v_mul_f32_e32 v0, v0, v37
	v_fma_f32 v3, v1, v36, -v0
	s_waitcnt vmcnt(2)
	v_mul_f32_e32 v0, v39, v41
	v_mul_f32_e32 v1, v38, v41
	v_fmac_f32_e32 v0, v38, v40
	v_fma_f32 v1, v39, v40, -v1
	v_add_u32_e32 v4, 0x800, v51
	ds_write2_b64 v4, v[2:3], v[0:1] offset0:64 offset1:104
	s_waitcnt vmcnt(0)
	v_mul_f32_e32 v0, v45, v43
	v_mul_f32_e32 v1, v44, v43
	v_fmac_f32_e32 v0, v44, v42
	v_fma_f32 v1, v45, v42, -v1
	ds_write_b64 v51, v[0:1] offset:3200
.LBB0_3:
	s_or_b64 exec, exec, s[2:3]
	s_load_dwordx2 s[2:3], s[0:1], 0x20
	s_load_dwordx2 s[10:11], s[0:1], 0x8
	v_mov_b64_e32 v[0:1], 0
	s_waitcnt lgkmcnt(0)
	; wave barrier
	s_waitcnt lgkmcnt(0)
                                        ; implicit-def: $vgpr8
                                        ; implicit-def: $vgpr6
                                        ; implicit-def: $vgpr16
                                        ; implicit-def: $vgpr14
                                        ; implicit-def: $vgpr38
	s_and_saveexec_b64 s[0:1], vcc
	s_cbranch_execz .LBB0_5
; %bb.4:
	ds_read2_b64 v[0:3], v51 offset1:40
	ds_read2_b64 v[12:15], v51 offset0:80 offset1:120
	ds_read2_b64 v[4:7], v51 offset0:160 offset1:200
	v_add_u32_e32 v8, 0x400, v51
	v_add_u32_e32 v16, 0x800, v51
	ds_read2_b64 v[8:11], v8 offset0:112 offset1:152
	ds_read2_b64 v[16:19], v16 offset0:64 offset1:104
	ds_read_b64 v[38:39], v51 offset:3200
.LBB0_5:
	s_or_b64 exec, exec, s[0:1]
	s_waitcnt lgkmcnt(0)
	v_pk_add_f32 v[28:29], v[2:3], v[38:39] neg_lo:[0,1] neg_hi:[0,1]
	s_mov_b32 s18, 0xbf0a6770
	v_pk_add_f32 v[26:27], v[38:39], v[2:3]
	v_pk_add_f32 v[30:31], v[12:13], v[18:19] neg_lo:[0,1] neg_hi:[0,1]
	s_mov_b32 s0, 0x3f575c64
	v_pk_mul_f32 v[36:37], v[28:29], s[18:19] op_sel_hi:[1,0]
	s_mov_b32 s26, 0xbf68dda4
	v_pk_add_f32 v[24:25], v[18:19], v[12:13]
	v_pk_fma_f32 v[54:55], v[26:27], s[0:1], v[36:37] op_sel:[0,0,1] op_sel_hi:[1,0,0]
	v_pk_fma_f32 v[46:47], v[26:27], s[0:1], v[36:37] op_sel:[0,0,1] op_sel_hi:[1,0,0] neg_lo:[0,0,1] neg_hi:[0,0,1]
	s_mov_b32 s4, 0x3ed4b147
	v_pk_mul_f32 v[40:41], v[30:31], s[26:27] op_sel_hi:[1,0]
	v_mov_b32_e32 v36, v54
	v_mov_b32_e32 v37, v47
	v_pk_fma_f32 v[56:57], v[24:25], s[4:5], v[40:41] op_sel:[0,0,1] op_sel_hi:[1,0,0]
	v_pk_fma_f32 v[58:59], v[24:25], s[4:5], v[40:41] op_sel:[0,0,1] op_sel_hi:[1,0,0] neg_lo:[0,0,1] neg_hi:[0,0,1]
	v_pk_add_f32 v[32:33], v[14:15], v[16:17] neg_lo:[0,1] neg_hi:[0,1]
	v_pk_add_f32 v[36:37], v[36:37], v[0:1]
	v_mov_b32_e32 v40, v56
	v_mov_b32_e32 v41, v59
	s_mov_b32 s16, 0xbf7d64f0
	v_pk_add_f32 v[22:23], v[16:17], v[14:15]
	v_pk_add_f32 v[36:37], v[40:41], v[36:37]
	s_mov_b32 s6, 0xbe11bafb
	v_pk_mul_f32 v[40:41], v[32:33], s[16:17] op_sel_hi:[1,0]
	v_pk_add_f32 v[34:35], v[4:5], v[10:11] neg_lo:[0,1] neg_hi:[0,1]
	v_pk_fma_f32 v[60:61], v[22:23], s[6:7], v[40:41] op_sel:[0,0,1] op_sel_hi:[1,0,0]
	v_pk_fma_f32 v[62:63], v[22:23], s[6:7], v[40:41] op_sel:[0,0,1] op_sel_hi:[1,0,0] neg_lo:[0,0,1] neg_hi:[0,0,1]
	v_mov_b32_e32 v40, v60
	v_mov_b32_e32 v41, v63
	s_mov_b32 s20, 0xbf4178ce
	v_pk_add_f32 v[20:21], v[10:11], v[4:5]
	v_pk_add_f32 v[36:37], v[40:41], v[36:37]
	s_mov_b32 s14, 0xbf27a4f4
	v_pk_mul_f32 v[40:41], v[34:35], s[20:21] op_sel_hi:[1,0]
	s_mov_b32 s24, 0xbe903f40
	v_pk_fma_f32 v[64:65], v[20:21], s[14:15], v[40:41] op_sel:[0,0,1] op_sel_hi:[1,0,0]
	v_pk_fma_f32 v[66:67], v[20:21], s[14:15], v[40:41] op_sel:[0,0,1] op_sel_hi:[1,0,0] neg_lo:[0,0,1] neg_hi:[0,0,1]
	v_mov_b32_e32 v40, v64
	v_mov_b32_e32 v41, v67
	v_pk_add_f32 v[42:43], v[6:7], v[8:9] neg_lo:[0,1] neg_hi:[0,1]
	v_pk_add_f32 v[36:37], v[40:41], v[36:37]
	v_pk_add_f32 v[40:41], v[8:9], v[6:7]
	s_mov_b32 s22, 0xbf75a155
	v_pk_mul_f32 v[44:45], v[42:43], s[24:25] op_sel_hi:[1,0]
	s_mov_b32 s30, 0x3f7d64f0
	v_pk_fma_f32 v[76:77], v[40:41], s[22:23], v[44:45] op_sel:[0,0,1] op_sel_hi:[1,0,0]
	v_pk_fma_f32 v[78:79], v[40:41], s[22:23], v[44:45] op_sel:[0,0,1] op_sel_hi:[1,0,0] neg_lo:[0,0,1] neg_hi:[0,0,1]
	v_mov_b32_e32 v44, v76
	v_mov_b32_e32 v45, v79
	v_pk_add_f32 v[52:53], v[44:45], v[36:37]
	v_pk_mul_f32 v[36:37], v[28:29], s[26:27] op_sel_hi:[1,0]
	v_pk_mul_f32 v[44:45], v[30:31], s[20:21] op_sel_hi:[1,0]
	v_pk_fma_f32 v[68:69], v[26:27], s[4:5], v[36:37] op_sel:[0,0,1] op_sel_hi:[1,0,0]
	v_pk_fma_f32 v[70:71], v[26:27], s[4:5], v[36:37] op_sel:[0,0,1] op_sel_hi:[1,0,0] neg_lo:[0,0,1] neg_hi:[0,0,1]
	v_mov_b32_e32 v36, v68
	v_mov_b32_e32 v37, v71
	v_pk_fma_f32 v[72:73], v[24:25], s[14:15], v[44:45] op_sel:[0,0,1] op_sel_hi:[1,0,0]
	v_pk_fma_f32 v[74:75], v[24:25], s[14:15], v[44:45] op_sel:[0,0,1] op_sel_hi:[1,0,0] neg_lo:[0,0,1] neg_hi:[0,0,1]
	v_mov_b32_e32 v44, v72
	v_mov_b32_e32 v45, v75
	v_pk_add_f32 v[36:37], v[36:37], v[0:1]
	s_mov_b32 s26, 0x3e903f40
	v_pk_add_f32 v[36:37], v[44:45], v[36:37]
	v_pk_mul_f32 v[44:45], v[32:33], s[26:27] op_sel_hi:[1,0]
	s_mov_b32 s28, 0x3f0a6770
	v_pk_fma_f32 v[80:81], v[22:23], s[22:23], v[44:45] op_sel:[0,0,1] op_sel_hi:[1,0,0]
	v_pk_fma_f32 v[82:83], v[22:23], s[22:23], v[44:45] op_sel:[0,0,1] op_sel_hi:[1,0,0] neg_lo:[0,0,1] neg_hi:[0,0,1]
	v_mov_b32_e32 v44, v80
	v_mov_b32_e32 v45, v83
	v_pk_add_f32 v[36:37], v[44:45], v[36:37]
	v_pk_mul_f32 v[44:45], v[34:35], s[30:31] op_sel_hi:[1,0]
	v_pk_mul_f32 v[98:99], v[30:31], s[26:27] op_sel_hi:[1,0]
	v_pk_fma_f32 v[84:85], v[20:21], s[6:7], v[44:45] op_sel:[0,0,1] op_sel_hi:[1,0,0]
	v_pk_fma_f32 v[86:87], v[20:21], s[6:7], v[44:45] op_sel:[0,0,1] op_sel_hi:[1,0,0] neg_lo:[0,0,1] neg_hi:[0,0,1]
	v_mov_b32_e32 v44, v84
	v_mov_b32_e32 v45, v87
	v_pk_add_f32 v[36:37], v[44:45], v[36:37]
	v_pk_mul_f32 v[44:45], v[42:43], s[28:29] op_sel_hi:[1,0]
	v_pk_fma_f32 v[96:97], v[24:25], s[22:23], v[98:99] op_sel:[0,0,1] op_sel_hi:[1,0,0]
	v_pk_fma_f32 v[88:89], v[40:41], s[0:1], v[44:45] op_sel:[0,0,1] op_sel_hi:[1,0,0]
	v_pk_fma_f32 v[90:91], v[40:41], s[0:1], v[44:45] op_sel:[0,0,1] op_sel_hi:[1,0,0] neg_lo:[0,0,1] neg_hi:[0,0,1]
	v_mov_b32_e32 v44, v88
	v_mov_b32_e32 v45, v91
	v_pk_add_f32 v[36:37], v[44:45], v[36:37]
	v_pk_mul_f32 v[44:45], v[28:29], s[16:17] op_sel_hi:[1,0]
	v_pk_fma_f32 v[98:99], v[24:25], s[22:23], v[98:99] op_sel:[0,0,1] op_sel_hi:[1,0,0] neg_lo:[0,0,1] neg_hi:[0,0,1]
	v_pk_fma_f32 v[92:93], v[26:27], s[6:7], v[44:45] op_sel:[0,0,1] op_sel_hi:[1,0,0]
	v_pk_fma_f32 v[94:95], v[26:27], s[6:7], v[44:45] op_sel:[0,0,1] op_sel_hi:[1,0,0] neg_lo:[0,0,1] neg_hi:[0,0,1]
	v_mov_b32_e32 v44, v92
	v_mov_b32_e32 v45, v95
	s_mov_b32 s34, 0x3f68dda4
	v_mov_b32_e32 v100, v96
	v_mov_b32_e32 v101, v99
	v_pk_add_f32 v[44:45], v[44:45], v[0:1]
	v_pk_mul_f32 v[102:103], v[32:33], s[34:35] op_sel_hi:[1,0]
	v_pk_add_f32 v[44:45], v[100:101], v[44:45]
	v_pk_fma_f32 v[100:101], v[22:23], s[4:5], v[102:103] op_sel:[0,0,1] op_sel_hi:[1,0,0]
	v_pk_fma_f32 v[102:103], v[22:23], s[4:5], v[102:103] op_sel:[0,0,1] op_sel_hi:[1,0,0] neg_lo:[0,0,1] neg_hi:[0,0,1]
	v_mov_b32_e32 v104, v100
	v_mov_b32_e32 v105, v103
	v_pk_mul_f32 v[106:107], v[34:35], s[18:19] op_sel_hi:[1,0]
	v_pk_add_f32 v[44:45], v[104:105], v[44:45]
	v_pk_fma_f32 v[104:105], v[20:21], s[0:1], v[106:107] op_sel:[0,0,1] op_sel_hi:[1,0,0]
	v_pk_fma_f32 v[106:107], v[20:21], s[0:1], v[106:107] op_sel:[0,0,1] op_sel_hi:[1,0,0] neg_lo:[0,0,1] neg_hi:[0,0,1]
	v_mov_b32_e32 v108, v104
	v_mov_b32_e32 v109, v107
	;; [unrolled: 6-line block ×3, first 2 shown]
	v_pk_add_f32 v[44:45], v[112:113], v[44:45]
	v_mul_lo_u16_e32 v120, 11, v48
	s_waitcnt lgkmcnt(0)
	; wave barrier
	s_and_saveexec_b64 s[26:27], vcc
	s_cbranch_execz .LBB0_7
; %bb.6:
	v_pk_add_f32 v[2:3], v[2:3], v[0:1]
	v_mov_b32_e32 v47, v55
	v_pk_add_f32 v[2:3], v[12:13], v[2:3]
	v_mov_b32_e32 v59, v57
	;; [unrolled: 2-line block ×3, first 2 shown]
	v_pk_add_f32 v[2:3], v[4:5], v[2:3]
	v_pk_add_f32 v[4:5], v[46:47], v[0:1]
	;; [unrolled: 1-line block ×7, first 2 shown]
	v_mov_b32_e32 v67, v65
	v_pk_add_f32 v[2:3], v[16:17], v[2:3]
	v_pk_add_f32 v[4:5], v[66:67], v[4:5]
	;; [unrolled: 1-line block ×3, first 2 shown]
	v_mov_b32_e32 v79, v77
	v_pk_add_f32 v[2:3], v[38:39], v[2:3]
	v_lshlrev_b32_e32 v60, 3, v120
	v_pk_add_f32 v[4:5], v[78:79], v[4:5]
	v_mov_b32_e32 v71, v69
	v_mov_b32_e32 v95, v93
	ds_write2_b64 v60, v[2:3], v[4:5] offset1:1
	v_pk_add_f32 v[2:3], v[70:71], v[0:1]
	v_mov_b32_e32 v75, v73
	v_pk_add_f32 v[4:5], v[94:95], v[0:1]
	v_mov_b32_e32 v99, v97
	;; [unrolled: 2-line block ×8, first 2 shown]
	v_pk_add_f32 v[2:3], v[90:91], v[2:3]
	v_pk_add_f32 v[4:5], v[110:111], v[4:5]
	ds_write2_b64 v60, v[2:3], v[4:5] offset0:2 offset1:3
	v_pk_mul_f32 v[2:3], v[28:29], s[20:21] op_sel_hi:[1,0]
	v_pk_mul_f32 v[8:9], v[30:31], s[30:31] op_sel_hi:[1,0]
	v_pk_fma_f32 v[4:5], v[26:27], s[14:15], v[2:3] op_sel:[0,0,1] op_sel_hi:[1,0,0] neg_lo:[0,0,1] neg_hi:[0,0,1]
	v_pk_fma_f32 v[2:3], v[26:27], s[14:15], v[2:3] op_sel:[0,0,1] op_sel_hi:[1,0,0]
	v_mov_b32_e32 v6, v4
	v_mov_b32_e32 v7, v3
	v_pk_fma_f32 v[10:11], v[24:25], s[6:7], v[8:9] op_sel:[0,0,1] op_sel_hi:[1,0,0] neg_lo:[0,0,1] neg_hi:[0,0,1]
	v_pk_fma_f32 v[8:9], v[24:25], s[6:7], v[8:9] op_sel:[0,0,1] op_sel_hi:[1,0,0]
	v_pk_add_f32 v[6:7], v[6:7], v[0:1]
	v_mov_b32_e32 v12, v10
	v_mov_b32_e32 v13, v9
	v_pk_add_f32 v[6:7], v[12:13], v[6:7]
	v_pk_mul_f32 v[12:13], v[32:33], s[18:19] op_sel_hi:[1,0]
	v_pk_mul_f32 v[28:29], v[28:29], s[24:25] op_sel_hi:[1,0]
	v_pk_fma_f32 v[14:15], v[22:23], s[0:1], v[12:13] op_sel:[0,0,1] op_sel_hi:[1,0,0] neg_lo:[0,0,1] neg_hi:[0,0,1]
	v_pk_fma_f32 v[12:13], v[22:23], s[0:1], v[12:13] op_sel:[0,0,1] op_sel_hi:[1,0,0]
	v_mov_b32_e32 v16, v14
	v_mov_b32_e32 v17, v13
	v_pk_add_f32 v[6:7], v[16:17], v[6:7]
	v_pk_mul_f32 v[16:17], v[34:35], s[24:25] op_sel_hi:[1,0]
	v_pk_mul_f32 v[30:31], v[30:31], s[28:29] op_sel_hi:[1,0]
	v_pk_fma_f32 v[18:19], v[20:21], s[22:23], v[16:17] op_sel:[0,0,1] op_sel_hi:[1,0,0] neg_lo:[0,0,1] neg_hi:[0,0,1]
	v_pk_fma_f32 v[16:17], v[20:21], s[22:23], v[16:17] op_sel:[0,0,1] op_sel_hi:[1,0,0]
	v_mov_b32_e32 v38, v18
	v_mov_b32_e32 v39, v17
	v_pk_add_f32 v[6:7], v[38:39], v[6:7]
	v_pk_mul_f32 v[38:39], v[42:43], s[34:35] op_sel_hi:[1,0]
	v_pk_fma_f32 v[56:57], v[24:25], s[0:1], v[30:31] op_sel:[0,0,1] op_sel_hi:[1,0,0] neg_lo:[0,0,1] neg_hi:[0,0,1]
	v_pk_fma_f32 v[46:47], v[40:41], s[4:5], v[38:39] op_sel:[0,0,1] op_sel_hi:[1,0,0] neg_lo:[0,0,1] neg_hi:[0,0,1]
	v_pk_fma_f32 v[38:39], v[40:41], s[4:5], v[38:39] op_sel:[0,0,1] op_sel_hi:[1,0,0]
	v_mov_b32_e32 v54, v46
	v_mov_b32_e32 v55, v39
	v_pk_add_f32 v[6:7], v[54:55], v[6:7]
	v_pk_fma_f32 v[54:55], v[26:27], s[22:23], v[28:29] op_sel:[0,0,1] op_sel_hi:[1,0,0] neg_lo:[0,0,1] neg_hi:[0,0,1]
	v_pk_fma_f32 v[26:27], v[26:27], s[22:23], v[28:29] op_sel:[0,0,1] op_sel_hi:[1,0,0]
	v_mov_b32_e32 v28, v54
	v_mov_b32_e32 v29, v27
	v_pk_fma_f32 v[24:25], v[24:25], s[0:1], v[30:31] op_sel:[0,0,1] op_sel_hi:[1,0,0]
	v_pk_mul_f32 v[32:33], v[32:33], s[20:21] op_sel_hi:[1,0]
	v_pk_add_f32 v[28:29], v[28:29], v[0:1]
	v_mov_b32_e32 v30, v56
	v_mov_b32_e32 v31, v25
	v_pk_add_f32 v[28:29], v[30:31], v[28:29]
	v_pk_fma_f32 v[30:31], v[22:23], s[14:15], v[32:33] op_sel:[0,0,1] op_sel_hi:[1,0,0] neg_lo:[0,0,1] neg_hi:[0,0,1]
	v_pk_fma_f32 v[22:23], v[22:23], s[14:15], v[32:33] op_sel:[0,0,1] op_sel_hi:[1,0,0]
	v_pk_mul_f32 v[34:35], v[34:35], s[34:35] op_sel_hi:[1,0]
	v_mov_b32_e32 v32, v30
	v_mov_b32_e32 v33, v23
	v_pk_add_f32 v[28:29], v[32:33], v[28:29]
	v_pk_fma_f32 v[32:33], v[20:21], s[4:5], v[34:35] op_sel:[0,0,1] op_sel_hi:[1,0,0] neg_lo:[0,0,1] neg_hi:[0,0,1]
	v_pk_fma_f32 v[20:21], v[20:21], s[4:5], v[34:35] op_sel:[0,0,1] op_sel_hi:[1,0,0]
	v_pk_mul_f32 v[42:43], v[42:43], s[16:17] op_sel_hi:[1,0]
	v_mov_b32_e32 v34, v32
	v_mov_b32_e32 v35, v21
	v_pk_add_f32 v[28:29], v[34:35], v[28:29]
	v_pk_fma_f32 v[34:35], v[40:41], s[6:7], v[42:43] op_sel:[0,0,1] op_sel_hi:[1,0,0] neg_lo:[0,0,1] neg_hi:[0,0,1]
	v_pk_fma_f32 v[40:41], v[40:41], s[6:7], v[42:43] op_sel:[0,0,1] op_sel_hi:[1,0,0]
	v_mov_b32_e32 v42, v34
	v_mov_b32_e32 v43, v41
	v_pk_add_f32 v[28:29], v[42:43], v[28:29]
	v_mov_b32_e32 v27, v55
	v_mov_b32_e32 v3, v5
	ds_write2_b64 v60, v[6:7], v[28:29] offset0:4 offset1:5
	v_pk_add_f32 v[6:7], v[26:27], v[0:1]
	v_mov_b32_e32 v25, v57
	v_pk_add_f32 v[0:1], v[2:3], v[0:1]
	v_mov_b32_e32 v9, v11
	;; [unrolled: 2-line block ×8, first 2 shown]
	v_pk_add_f32 v[6:7], v[40:41], v[6:7]
	v_pk_add_f32 v[0:1], v[38:39], v[0:1]
	ds_write2_b64 v60, v[6:7], v[0:1] offset0:6 offset1:7
	ds_write2_b64 v60, v[44:45], v[36:37] offset0:8 offset1:9
	ds_write_b64 v60, v[52:53] offset:80
.LBB0_7:
	s_or_b64 exec, exec, s[26:27]
	s_movk_i32 s0, 0x75
	v_mul_lo_u16_sdwa v0, v48, s0 dst_sel:DWORD dst_unused:UNUSED_PAD src0_sel:BYTE_0 src1_sel:DWORD
	v_sub_u16_sdwa v1, v48, v0 dst_sel:DWORD dst_unused:UNUSED_PAD src0_sel:DWORD src1_sel:BYTE_1
	v_lshrrev_b16_e32 v1, 1, v1
	v_and_b32_e32 v1, 0x7f, v1
	v_add_u16_sdwa v0, v1, v0 dst_sel:DWORD dst_unused:UNUSED_PAD src0_sel:DWORD src1_sel:BYTE_1
	v_lshrrev_b16_e32 v74, 3, v0
	v_mul_lo_u16_e32 v0, 11, v74
	v_sub_u16_e32 v0, v48, v0
	v_and_b32_e32 v75, 0xff, v0
	v_mad_u64_u32 v[12:13], s[0:1], v75, 56, s[10:11]
	s_load_dwordx4 s[4:7], s[2:3], 0x0
	s_waitcnt lgkmcnt(0)
	; wave barrier
	s_waitcnt lgkmcnt(0)
	global_load_dwordx4 v[4:7], v[12:13], off
	global_load_dwordx4 v[0:3], v[12:13], off offset:16
	global_load_dwordx4 v[8:11], v[12:13], off offset:32
	global_load_dwordx2 v[54:55], v[12:13], off offset:48
	ds_read2_b64 v[12:15], v51 offset1:55
	v_add_u32_e32 v76, 0x400, v51
	v_add_u32_e32 v24, 0x800, v51
	ds_read2_b64 v[16:19], v51 offset0:110 offset1:165
	ds_read2_b64 v[20:23], v76 offset0:92 offset1:147
	;; [unrolled: 1-line block ×3, first 2 shown]
	s_waitcnt lgkmcnt(3)
	v_add_f32_e32 v30, v13, v13
	v_mov_b32_e32 v32, v13
	v_mov_b32_e32 v28, v15
	s_waitcnt lgkmcnt(1)
	v_mov_b32_e32 v34, v21
	s_waitcnt lgkmcnt(0)
	v_mov_b32_e32 v35, v25
	s_mov_b32 s0, 0x3f3504f3
	s_waitcnt lgkmcnt(0)
	; wave barrier
	v_cmp_lt_u16_e64 s[2:3], 32, v48
	s_waitcnt vmcnt(3)
	v_pk_mul_f32 v[38:39], v[14:15], v[4:5]
	s_waitcnt vmcnt(2)
	v_mov_b32_e32 v13, v0
	v_pk_mul_f32 v[58:59], v[18:19], v[0:1]
	v_mov_b32_e32 v40, v5
	v_mov_b32_e32 v46, v7
	v_pk_mul_f32 v[56:57], v[16:17], v[6:7] op_sel:[1,0] op_sel_hi:[0,1]
	v_pk_mul_f32 v[60:61], v[18:19], v[0:1] op_sel:[1,0] op_sel_hi:[0,1]
	s_waitcnt vmcnt(0)
	v_mov_b32_e32 v58, v55
	v_pk_mul_f32 v[64:65], v[26:27], v[54:55] op_sel:[1,0] op_sel_hi:[0,1]
	v_pk_mul_f32 v[18:19], v[18:19], v[12:13] op_sel:[1,0] op_sel_hi:[0,1]
	v_mul_f32_e32 v29, v21, v3
	v_mul_f32_e32 v56, v24, v10
	;; [unrolled: 1-line block ×3, first 2 shown]
	v_mov_b32_e32 v21, v24
	v_mov_b32_e32 v24, v3
	;; [unrolled: 1-line block ×3, first 2 shown]
	v_pk_mul_f32 v[14:15], v[14:15], v[40:41]
	v_pk_mul_f32 v[40:41], v[16:17], v[46:47] op_sel:[1,0] op_sel_hi:[0,1]
	v_mov_b32_e32 v46, v57
	v_pk_mul_f32 v[70:71], v[26:27], v[58:59] op_sel:[1,0] op_sel_hi:[0,1]
	v_mov_b32_e32 v72, v60
	v_mov_b32_e32 v73, v64
	v_mov_b32_e32 v64, v61
	v_mov_b32_e32 v58, v39
	v_mov_b32_e32 v18, v38
	v_pk_mul_f32 v[42:43], v[16:17], v[6:7]
	v_mul_f32_e32 v31, v23, v9
	v_mov_b32_e32 v66, v2
	v_mov_b32_e32 v67, v10
	v_fma_f32 v13, v20, v2, -v29
	v_pk_mul_f32 v[20:21], v[20:21], v[24:25]
	v_pk_fma_f32 v[14:15], v[28:29], v[4:5], v[14:15]
	v_pk_fma_f32 v[16:17], v[16:17], v[6:7], v[46:47] op_sel:[1,0,0] op_sel_hi:[0,1,1]
	v_mul_f32_e32 v41, v22, v9
	v_pk_fma_f32 v[24:25], v[26:27], v[54:55], v[70:71] neg_lo:[0,0,1] neg_hi:[0,0,1]
	v_pk_add_f32 v[26:27], v[72:73], v[64:65]
	v_pk_add_f32 v[18:19], v[18:19], v[58:59] neg_lo:[0,1] neg_hi:[0,1]
	v_fma_f32 v68, v22, v8, -v31
	v_sub_f32_e32 v31, v12, v13
	v_pk_fma_f32 v[20:21], v[34:35], v[66:67], v[20:21]
	v_fmac_f32_e32 v41, v23, v8
	v_mov_b32_e32 v33, v16
	v_mov_b32_e32 v43, v14
	;; [unrolled: 1-line block ×8, first 2 shown]
	v_pk_add_f32 v[20:21], v[32:33], v[20:21] neg_lo:[0,1] neg_hi:[0,1]
	v_pk_add_f32 v[24:25], v[42:43], v[40:41] neg_lo:[0,1] neg_hi:[0,1]
	;; [unrolled: 1-line block ×4, first 2 shown]
	v_sub_f32_e32 v42, v14, v15
	v_pk_add_f32 v[34:35], v[24:25], v[32:33] neg_lo:[0,1] neg_hi:[0,1]
	v_pk_add_f32 v[38:39], v[24:25], v[32:33]
	v_mov_b32_e32 v32, v14
	v_mov_b32_e32 v22, v31
	v_fma_f32 v16, v16, 2.0, -v21
	v_pk_add_f32 v[28:29], v[30:31], v[20:21] neg_lo:[0,1] neg_hi:[0,1]
	v_mov_b32_e32 v23, v25
	v_mul_f32_e32 v17, 0x3f3504f3, v42
	v_pk_fma_f32 v[18:19], v[18:19], 2.0, v[32:33] op_sel_hi:[1,0,1] neg_lo:[0,0,1] neg_hi:[0,0,1]
	v_pk_fma_f32 v[22:23], v[12:13], 2.0, v[22:23] op_sel_hi:[1,0,1] neg_lo:[0,0,1] neg_hi:[0,0,1]
	v_fma_f32 v12, v14, 2.0, -v42
	v_pk_add_f32 v[32:33], v[28:29], v[16:17] neg_lo:[0,1] neg_hi:[0,1]
	v_pk_add_f32 v[16:17], v[28:29], v[16:17]
	v_mov_b32_e32 v14, v19
	v_mov_b32_e32 v33, v17
	v_pk_add_f32 v[16:17], v[18:19], v[14:15] neg_lo:[0,1] neg_hi:[0,1]
	v_mov_b32_e32 v40, v24
	v_mov_b32_e32 v41, v26
	;; [unrolled: 1-line block ×3, first 2 shown]
	v_pk_fma_f32 v[14:15], v[40:41], 2.0, v[14:15] op_sel_hi:[1,0,1] neg_lo:[0,0,1] neg_hi:[0,0,1]
	v_pk_add_f32 v[34:35], v[20:21], v[34:35]
	v_pk_add_f32 v[14:15], v[22:23], v[14:15] neg_lo:[0,1] neg_hi:[0,1]
	v_mov_b32_e32 v30, v31
	v_mov_b32_e32 v26, v15
	v_pk_add_f32 v[40:41], v[14:15], v[26:27] neg_lo:[0,1] neg_hi:[0,1]
	v_mov_b32_e32 v26, v20
	v_mov_b32_e32 v31, v20
	;; [unrolled: 1-line block ×4, first 2 shown]
	v_fma_f32 v13, v25, 2.0, -v39
	v_mov_b32_e32 v27, 0x3f3504f3
	v_pk_fma_f32 v[30:31], v[30:31], 2.0, v[20:21] op_sel_hi:[1,0,1] neg_lo:[0,0,1] neg_hi:[0,0,1]
	v_pk_mul_f32 v[24:25], v[12:13], s[0:1] op_sel_hi:[1,0]
	v_pk_mul_f32 v[26:27], v[26:27], v[38:39]
	v_pk_fma_f32 v[12:13], v[12:13], s[0:1], v[30:31] op_sel_hi:[1,0,1] neg_lo:[1,0,0] neg_hi:[1,0,0]
	v_mov_b32_e32 v17, v27
	v_pk_add_f32 v[38:39], v[12:13], v[24:25] op_sel:[0,1] op_sel_hi:[1,0] neg_lo:[0,1] neg_hi:[0,1]
	v_pk_add_f32 v[12:13], v[12:13], v[24:25] op_sel:[0,1] op_sel_hi:[1,0]
	v_pk_add_f32 v[46:47], v[32:33], v[16:17]
	v_mov_b32_e32 v39, v13
	v_pk_add_f32 v[12:13], v[32:33], v[16:17] neg_lo:[0,1] neg_hi:[0,1]
	v_add_f32_e32 v43, v34, v27
	v_mov_b32_e32 v24, v22
	v_mov_b32_e32 v25, v28
	;; [unrolled: 1-line block ×6, first 2 shown]
	v_pk_fma_f32 v[24:25], v[24:25], 2.0, v[26:27] op_sel_hi:[1,0,1] neg_lo:[0,0,1] neg_hi:[0,0,1]
	v_pk_fma_f32 v[14:15], v[18:19], 2.0, v[16:17] op_sel_hi:[1,0,1] neg_lo:[0,0,1] neg_hi:[0,0,1]
	v_mul_u32_u24_e32 v12, 0x58, v74
	v_pk_add_f32 v[14:15], v[24:25], v[14:15] neg_lo:[0,1] neg_hi:[0,1]
	v_fmac_f32_e32 v43, 0x3f3504f3, v42
	v_add_lshl_u32 v121, v12, v75, 3
	v_pk_fma_f32 v[16:17], v[24:25], 2.0, v[14:15] op_sel_hi:[1,0,1] neg_lo:[0,0,1] neg_hi:[0,0,1]
	v_pk_fma_f32 v[18:19], v[30:31], 2.0, v[38:39] op_sel_hi:[1,0,1] neg_lo:[0,0,1] neg_hi:[0,0,1]
	v_mov_b32_e32 v41, v46
	v_mov_b32_e32 v42, v13
	ds_write2_b64 v121, v[16:17], v[18:19] offset1:11
	v_pk_fma_f32 v[16:17], v[26:27], 2.0, v[40:41] op_sel_hi:[1,0,1] neg_lo:[0,0,1] neg_hi:[0,0,1]
	v_pk_fma_f32 v[18:19], v[20:21], 2.0, v[42:43] op_sel_hi:[1,0,1] neg_lo:[0,0,1] neg_hi:[0,0,1]
	ds_write2_b64 v121, v[16:17], v[18:19] offset0:22 offset1:33
	ds_write2_b64 v121, v[14:15], v[38:39] offset0:44 offset1:55
	ds_write2_b64 v121, v[40:41], v[42:43] offset0:66 offset1:77
	s_waitcnt lgkmcnt(0)
	; wave barrier
	s_waitcnt lgkmcnt(0)
	ds_read2_b64 v[28:31], v51 offset1:88
	ds_read2_b64 v[32:35], v76 offset0:48 offset1:136
	ds_read_b64 v[56:57], v51 offset:2816
	v_cmp_gt_u16_e64 s[0:1], 33, v48
	s_and_saveexec_b64 s[14:15], s[2:3]
	s_xor_b64 s[14:15], exec, s[14:15]
; %bb.8:
	v_mov_b32_e32 v47, v13
; %bb.9:
	s_andn2_saveexec_b64 s[14:15], s[14:15]
	s_cbranch_execz .LBB0_11
; %bb.10:
	ds_read2_b64 v[38:41], v51 offset0:55 offset1:143
	v_add_u32_e32 v12, 0x400, v51
	ds_read2_b64 v[42:45], v12 offset0:103 offset1:191
	ds_read_b64 v[36:37], v51 offset:3256
	s_waitcnt lgkmcnt(2)
	v_mov_b32_e32 v46, v41
	s_waitcnt lgkmcnt(1)
	v_mov_b32_e32 v47, v42
.LBB0_11:
	s_or_b64 exec, exec, s[14:15]
	s_movk_i32 s14, 0xffdf
	v_lshlrev_b32_e32 v12, 5, v48
	s_mov_b32 s15, -1
	global_load_dwordx4 v[20:23], v12, s[10:11] offset:616
	global_load_dwordx4 v[24:27], v12, s[10:11] offset:632
	v_lshl_add_u64 v[12:13], v[48:49], 0, 55
	v_lshl_add_u64 v[14:15], v[48:49], 0, s[14:15]
	v_cndmask_b32_e64 v13, v15, v13, s[0:1]
	v_cndmask_b32_e64 v12, v14, v12, s[0:1]
	v_lshlrev_b64 v[12:13], 5, v[12:13]
	v_lshl_add_u64 v[58:59], s[10:11], 0, v[12:13]
	global_load_dwordx4 v[16:19], v[58:59], off offset:616
	global_load_dwordx4 v[12:15], v[58:59], off offset:632
	v_mov_b32_e32 v42, v43
	s_mov_b32 s10, 0x3f737871
	s_mov_b32 s14, 0x3f167918
	;; [unrolled: 1-line block ×3, first 2 shown]
	v_add_u32_e32 v49, 0x400, v51
	s_waitcnt vmcnt(3)
	v_mov_b32_e32 v58, v23
	s_waitcnt vmcnt(2) lgkmcnt(1)
	v_pk_mul_f32 v[60:61], v[34:35], v[24:25] op_sel:[0,1]
	v_mov_b32_e32 v62, v27
	v_pk_mul_f32 v[64:65], v[30:31], v[20:21] op_sel_hi:[1,0]
	v_mov_b32_e32 v66, v21
	v_pk_mul_f32 v[58:59], v[32:33], v[58:59] op_sel_hi:[1,0]
	v_pk_fma_f32 v[68:69], v[34:35], v[24:25], v[60:61] op_sel:[0,0,1] op_sel_hi:[1,1,0] neg_lo:[0,0,1] neg_hi:[0,0,1]
	v_pk_fma_f32 v[34:35], v[34:35], v[24:25], v[60:61] op_sel:[0,0,1] op_sel_hi:[1,0,0]
	s_waitcnt lgkmcnt(0)
	v_pk_mul_f32 v[60:61], v[56:57], v[62:63] op_sel_hi:[1,0]
	v_pk_fma_f32 v[62:63], v[30:31], v[66:67], v[64:65] op_sel:[0,0,1] op_sel_hi:[1,1,0]
	v_pk_fma_f32 v[30:31], v[30:31], v[20:21], v[64:65] op_sel:[0,1,1] op_sel_hi:[1,1,0] neg_lo:[1,0,0] neg_hi:[1,0,0]
	v_pk_fma_f32 v[64:65], v[32:33], v[22:23], v[58:59] op_sel:[0,0,1] op_sel_hi:[1,1,0] neg_lo:[0,0,1] neg_hi:[0,0,1]
	v_pk_fma_f32 v[32:33], v[32:33], v[22:23], v[58:59] op_sel:[0,0,1] op_sel_hi:[1,0,0]
	v_mov_b32_e32 v69, v35
	v_pk_fma_f32 v[34:35], v[56:57], v[26:27], v[60:61] op_sel:[0,0,1] op_sel_hi:[1,1,0] neg_lo:[0,0,1] neg_hi:[0,0,1]
	v_pk_fma_f32 v[56:57], v[56:57], v[26:27], v[60:61] op_sel:[0,0,1] op_sel_hi:[1,0,0]
	v_mov_b32_e32 v63, v31
	v_mov_b32_e32 v30, v31
	;; [unrolled: 1-line block ×6, first 2 shown]
	v_pk_add_f32 v[56:57], v[28:29], v[30:31]
	v_mov_b32_e32 v33, v34
	s_waitcnt vmcnt(1)
	v_pk_mul_f32 v[60:61], v[46:47], v[16:17] op_sel_hi:[0,1]
	v_pk_mul_f32 v[42:43], v[42:43], v[18:19] op_sel_hi:[0,1]
	s_waitcnt vmcnt(0)
	v_pk_mul_f32 v[66:67], v[44:45], v[12:13] op_sel:[1,0]
	v_pk_mul_f32 v[70:71], v[36:37], v[14:15] op_sel:[1,0]
	v_pk_add_f32 v[72:73], v[64:65], v[68:69]
	v_pk_add_f32 v[56:57], v[56:57], v[64:65]
	v_pk_add_f32 v[32:33], v[62:63], v[32:33] neg_lo:[0,1] neg_hi:[0,1]
	v_pk_add_f32 v[62:63], v[30:31], v[64:65] neg_lo:[0,1] neg_hi:[0,1]
	;; [unrolled: 1-line block ×4, first 2 shown]
	v_pk_add_f32 v[30:31], v[30:31], v[34:35]
	v_pk_fma_f32 v[78:79], v[40:41], v[16:17], v[60:61] op_sel:[0,0,1] op_sel_hi:[1,1,0] neg_lo:[0,0,1] neg_hi:[0,0,1]
	v_pk_fma_f32 v[40:41], v[40:41], v[16:17], v[60:61] op_sel:[0,0,1] op_sel_hi:[0,1,0]
	v_pk_fma_f32 v[60:61], v[46:47], v[18:19], v[42:43] op_sel:[1,0,1] op_sel_hi:[1,1,0] neg_lo:[0,0,1] neg_hi:[0,0,1]
	v_pk_fma_f32 v[42:43], v[46:47], v[18:19], v[42:43] op_sel:[1,0,1] op_sel_hi:[1,1,0]
	;; [unrolled: 2-line block ×4, first 2 shown]
	v_pk_fma_f32 v[70:71], v[72:73], 0.5, v[28:29] op_sel_hi:[1,0,1] neg_lo:[1,0,0] neg_hi:[1,0,0]
	v_pk_add_f32 v[56:57], v[56:57], v[68:69]
	v_pk_add_f32 v[58:59], v[34:35], v[68:69] neg_lo:[0,1] neg_hi:[0,1]
	v_pk_add_f32 v[74:75], v[68:69], v[34:35] neg_lo:[0,1] neg_hi:[0,1]
	v_pk_mul_f32 v[72:73], v[64:65], s[10:11] op_sel_hi:[1,0]
	v_pk_mul_f32 v[64:65], v[64:65], s[14:15] op_sel_hi:[1,0]
	v_pk_fma_f32 v[30:31], v[30:31], 0.5, v[28:29] op_sel_hi:[1,0,1] neg_lo:[1,0,0] neg_hi:[1,0,0]
	v_mov_b32_e32 v67, v37
	v_pk_fma_f32 v[36:37], v[32:33], s[10:11], v[70:71] op_sel_hi:[1,0,1] neg_lo:[1,0,0] neg_hi:[1,0,0]
	v_pk_add_f32 v[28:29], v[56:57], v[34:35]
	v_pk_fma_f32 v[34:35], v[32:33], s[10:11], v[70:71] op_sel_hi:[1,0,1]
	v_mov_b32_e32 v79, v41
	v_pk_add_f32 v[40:41], v[30:31], v[72:73] op_sel:[0,1] op_sel_hi:[1,0] neg_lo:[0,1] neg_hi:[0,1]
	v_pk_add_f32 v[30:31], v[72:73], v[30:31] op_sel:[1,0] op_sel_hi:[0,1]
	v_pk_add_f32 v[36:37], v[36:37], v[64:65] op_sel:[0,1] op_sel_hi:[1,0] neg_lo:[0,1] neg_hi:[0,1]
	v_pk_add_f32 v[34:35], v[34:35], v[64:65] op_sel:[0,1] op_sel_hi:[1,0]
	v_pk_add_f32 v[58:59], v[62:63], v[58:59]
	v_mov_b32_e32 v61, v43
	v_mov_b32_e32 v47, v45
	v_pk_fma_f32 v[30:31], v[32:33], s[14:15], v[30:31] op_sel_hi:[1,0,1] neg_lo:[1,0,0] neg_hi:[1,0,0]
	v_pk_fma_f32 v[32:33], v[32:33], s[14:15], v[40:41] op_sel_hi:[1,0,1]
	v_mov_b32_e32 v42, v34
	v_mov_b32_e32 v43, v37
	;; [unrolled: 1-line block ×5, first 2 shown]
	v_pk_fma_f32 v[30:31], v[58:59], s[16:17], v[42:43] op_sel_hi:[1,0,1]
	v_pk_add_f32 v[42:43], v[60:61], v[46:47]
	v_mov_b32_e32 v37, v35
	v_pk_fma_f32 v[42:43], v[42:43], 0.5, v[38:39] op_sel_hi:[1,0,1] neg_lo:[1,0,0] neg_hi:[1,0,0]
	v_pk_add_f32 v[44:45], v[78:79], v[66:67] neg_lo:[0,1] neg_hi:[0,1]
	v_pk_fma_f32 v[36:37], v[58:59], s[16:17], v[36:37] op_sel_hi:[1,0,1]
	v_pk_fma_f32 v[56:57], v[44:45], s[10:11], v[42:43] op_sel:[1,0,0] op_sel_hi:[0,0,1]
	v_pk_fma_f32 v[42:43], v[44:45], s[10:11], v[42:43] op_sel:[1,0,0] op_sel_hi:[0,0,1] neg_lo:[1,0,0] neg_hi:[1,0,0]
	v_pk_add_f32 v[58:59], v[60:61], v[46:47] neg_lo:[0,1] neg_hi:[0,1]
	v_pk_add_f32 v[68:69], v[76:77], v[74:75]
	v_pk_fma_f32 v[42:43], v[58:59], s[14:15], v[42:43] op_sel:[1,0,0] op_sel_hi:[0,0,1] neg_lo:[1,0,0] neg_hi:[1,0,0]
	v_pk_fma_f32 v[56:57], v[58:59], s[14:15], v[56:57] op_sel:[1,0,0] op_sel_hi:[0,0,1]
	v_mov_b32_e32 v62, v56
	v_mov_b32_e32 v63, v43
	;; [unrolled: 1-line block ×3, first 2 shown]
	v_pk_add_f32 v[56:57], v[78:79], v[66:67]
	v_pk_fma_f32 v[34:35], v[68:69], s[16:17], v[40:41] op_sel_hi:[1,0,1]
	v_pk_add_f32 v[40:41], v[38:39], v[78:79]
	v_pk_fma_f32 v[38:39], v[56:57], 0.5, v[38:39] op_sel_hi:[1,0,1] neg_lo:[1,0,0] neg_hi:[1,0,0]
	v_pk_add_f32 v[40:41], v[40:41], v[60:61]
	v_pk_fma_f32 v[56:57], v[58:59], s[10:11], v[38:39] op_sel:[1,0,0] op_sel_hi:[0,0,1] neg_lo:[1,0,0] neg_hi:[1,0,0]
	v_pk_fma_f32 v[38:39], v[58:59], s[10:11], v[38:39] op_sel:[1,0,0] op_sel_hi:[0,0,1]
	v_pk_fma_f32 v[32:33], v[68:69], s[16:17], v[32:33] op_sel_hi:[1,0,1]
	v_pk_add_f32 v[40:41], v[40:41], v[46:47]
	v_pk_add_f32 v[64:65], v[78:79], v[60:61] neg_lo:[0,1] neg_hi:[0,1]
	v_pk_add_f32 v[68:69], v[66:67], v[46:47] neg_lo:[0,1] neg_hi:[0,1]
	v_pk_fma_f32 v[58:59], v[44:45], s[14:15], v[38:39] op_sel:[1,0,0] op_sel_hi:[0,0,1] neg_lo:[1,0,0] neg_hi:[1,0,0]
	v_pk_fma_f32 v[38:39], v[44:45], s[14:15], v[56:57] op_sel:[1,0,0] op_sel_hi:[0,0,1]
	v_pk_add_f32 v[56:57], v[60:61], v[78:79] neg_lo:[0,1] neg_hi:[0,1]
	v_pk_add_f32 v[46:47], v[46:47], v[66:67] neg_lo:[0,1] neg_hi:[0,1]
	v_pk_add_f32 v[64:65], v[64:65], v[68:69]
	v_mov_b32_e32 v44, v38
	v_mov_b32_e32 v45, v59
	v_pk_add_f32 v[56:57], v[56:57], v[46:47]
	v_mov_b32_e32 v59, v39
	v_pk_add_f32 v[38:39], v[40:41], v[66:67]
	v_pk_fma_f32 v[40:41], v[64:65], s[16:17], v[62:63] op_sel_hi:[1,0,1]
	v_pk_fma_f32 v[46:47], v[64:65], s[16:17], v[42:43] op_sel_hi:[1,0,1]
	;; [unrolled: 1-line block ×4, first 2 shown]
	ds_write2_b64 v51, v[28:29], v[30:31] offset1:88
	ds_write2_b64 v49, v[32:33], v[34:35] offset0:48 offset1:136
	ds_write_b64 v51, v[36:37] offset:2816
	s_and_saveexec_b64 s[10:11], s[0:1]
	s_cbranch_execz .LBB0_13
; %bb.12:
	ds_write2_b64 v51, v[38:39], v[40:41] offset0:55 offset1:143
	ds_write2_b64 v49, v[42:43], v[44:45] offset0:103 offset1:191
	ds_write_b64 v51, v[46:47] offset:3256
.LBB0_13:
	s_or_b64 exec, exec, s[10:11]
	s_waitcnt lgkmcnt(0)
	; wave barrier
	s_waitcnt lgkmcnt(0)
	s_and_saveexec_b64 s[10:11], vcc
	s_cbranch_execz .LBB0_15
; %bb.14:
	global_load_dwordx2 v[56:57], v51, s[8:9] offset:3520
	s_add_u32 s14, s8, 0xdc0
	s_addc_u32 s15, s9, 0
	global_load_dwordx2 v[76:77], v51, s[14:15] offset:320
	global_load_dwordx2 v[78:79], v51, s[14:15] offset:640
	;; [unrolled: 1-line block ×10, first 2 shown]
	ds_read_b64 v[58:59], v51
	v_add_u32_e32 v49, 0x800, v51
	s_waitcnt vmcnt(10) lgkmcnt(0)
	v_mul_f32_e32 v60, v59, v57
	v_mul_f32_e32 v61, v58, v57
	v_fma_f32 v60, v58, v56, -v60
	v_fmac_f32_e32 v61, v59, v56
	ds_write_b64 v51, v[60:61]
	ds_read2_b64 v[56:59], v51 offset0:40 offset1:80
	ds_read2_b64 v[60:63], v51 offset0:120 offset1:160
	;; [unrolled: 1-line block ×5, first 2 shown]
	s_waitcnt vmcnt(9) lgkmcnt(4)
	v_mul_f32_e32 v96, v57, v77
	v_mul_f32_e32 v97, v56, v77
	s_waitcnt vmcnt(8)
	v_mul_f32_e32 v98, v59, v79
	v_mul_f32_e32 v77, v58, v79
	s_waitcnt vmcnt(7) lgkmcnt(3)
	v_mul_f32_e32 v99, v61, v81
	v_mul_f32_e32 v79, v60, v81
	s_waitcnt vmcnt(6)
	v_mul_f32_e32 v100, v63, v83
	v_mul_f32_e32 v81, v62, v83
	s_waitcnt vmcnt(5) lgkmcnt(2)
	v_mul_f32_e32 v101, v65, v85
	v_mul_f32_e32 v83, v64, v85
	s_waitcnt vmcnt(4)
	v_mul_f32_e32 v102, v67, v87
	v_mul_f32_e32 v85, v66, v87
	s_waitcnt vmcnt(3) lgkmcnt(1)
	v_mul_f32_e32 v103, v69, v89
	v_mul_f32_e32 v87, v68, v89
	s_waitcnt vmcnt(2)
	v_mul_f32_e32 v104, v71, v91
	v_mul_f32_e32 v89, v70, v91
	s_waitcnt vmcnt(1) lgkmcnt(0)
	v_mul_f32_e32 v105, v73, v93
	v_mul_f32_e32 v91, v72, v93
	s_waitcnt vmcnt(0)
	v_mul_f32_e32 v106, v75, v95
	v_mul_f32_e32 v93, v74, v95
	v_fma_f32 v96, v56, v76, -v96
	v_fmac_f32_e32 v97, v57, v76
	v_fma_f32 v76, v58, v78, -v98
	v_fmac_f32_e32 v77, v59, v78
	;; [unrolled: 2-line block ×10, first 2 shown]
	ds_write2_b64 v51, v[96:97], v[76:77] offset0:40 offset1:80
	ds_write2_b64 v51, v[78:79], v[80:81] offset0:120 offset1:160
	;; [unrolled: 1-line block ×5, first 2 shown]
.LBB0_15:
	s_or_b64 exec, exec, s[10:11]
	s_waitcnt lgkmcnt(0)
	; wave barrier
	s_waitcnt lgkmcnt(0)
	s_and_saveexec_b64 s[10:11], vcc
	s_cbranch_execz .LBB0_17
; %bb.16:
	ds_read2_b64 v[28:31], v51 offset1:40
	ds_read2_b64 v[32:35], v51 offset0:80 offset1:120
	ds_read2_b64 v[36:39], v51 offset0:160 offset1:200
	v_add_u32_e32 v40, 0x400, v51
	v_add_u32_e32 v44, 0x800, v51
	ds_read2_b64 v[40:43], v40 offset0:112 offset1:152
	ds_read2_b64 v[44:47], v44 offset0:64 offset1:104
	ds_read_b64 v[52:53], v51 offset:3200
.LBB0_17:
	s_or_b64 exec, exec, s[10:11]
	s_waitcnt lgkmcnt(0)
	v_pk_add_f32 v[56:57], v[30:31], v[52:53] neg_lo:[0,1] neg_hi:[0,1]
	v_pk_add_f32 v[70:71], v[30:31], v[52:53]
	v_mov_b32_e32 v61, v56
	v_mov_b32_e32 v60, v70
	;; [unrolled: 1-line block ×3, first 2 shown]
	v_pk_add_f32 v[56:57], v[32:33], v[46:47] neg_lo:[0,1] neg_hi:[0,1]
	v_pk_add_f32 v[72:73], v[32:33], v[46:47]
	v_mov_b32_e32 v63, v56
	v_mov_b32_e32 v62, v72
	v_mov_b32_e32 v72, v57
	v_pk_add_f32 v[56:57], v[34:35], v[44:45] neg_lo:[0,1] neg_hi:[0,1]
	v_pk_add_f32 v[74:75], v[34:35], v[44:45]
	s_mov_b32 s44, 0xbf68dda4
	v_mov_b32_e32 v64, v74
	v_mov_b32_e32 v65, v56
	;; [unrolled: 1-line block ×3, first 2 shown]
	v_pk_add_f32 v[56:57], v[36:37], v[42:43] neg_lo:[0,1] neg_hi:[0,1]
	v_pk_add_f32 v[76:77], v[36:37], v[42:43]
	s_mov_b32 s45, 0x3ed4b147
	s_mov_b32 s28, 0xbf4178ce
	v_mov_b32_e32 v66, v76
	v_mov_b32_e32 v67, v56
	;; [unrolled: 1-line block ×3, first 2 shown]
	v_pk_add_f32 v[56:57], v[38:39], v[40:41] neg_lo:[0,1] neg_hi:[0,1]
	v_pk_add_f32 v[78:79], v[38:39], v[40:41]
	v_pk_mul_f32 v[80:81], v[70:71], s[44:45]
	s_mov_b32 s10, s45
	s_mov_b32 s11, s44
	;; [unrolled: 1-line block ×3, first 2 shown]
	v_mov_b32_e32 v68, v78
	v_mov_b32_e32 v69, v56
	;; [unrolled: 1-line block ×3, first 2 shown]
	v_pk_fma_f32 v[56:57], v[60:61], s[10:11], v[80:81] neg_lo:[0,0,1] neg_hi:[0,0,1]
	v_pk_fma_f32 v[82:83], v[60:61], s[10:11], v[80:81]
	v_pk_mul_f32 v[84:85], v[72:73], s[28:29]
	s_mov_b32 s14, s29
	s_mov_b32 s15, s28
	;; [unrolled: 1-line block ×3, first 2 shown]
	v_mov_b32_e32 v57, v83
	v_pk_fma_f32 v[58:59], v[62:63], s[14:15], v[84:85] neg_lo:[0,0,1] neg_hi:[0,0,1]
	v_pk_fma_f32 v[86:87], v[62:63], s[14:15], v[84:85]
	s_mov_b32 s22, 0x3e903f40
	s_mov_b32 s23, s16
	v_pk_add_f32 v[56:57], v[28:29], v[56:57]
	v_mov_b32_e32 v59, v87
	v_pk_mul_f32 v[88:89], v[74:75], s[22:23]
	s_mov_b32 s17, s22
	s_mov_b32 s38, 0x3f7d64f0
	v_pk_add_f32 v[56:57], v[58:59], v[56:57]
	v_pk_fma_f32 v[58:59], v[64:65], s[16:17], v[88:89] neg_lo:[0,0,1] neg_hi:[0,0,1]
	v_pk_fma_f32 v[90:91], v[64:65], s[16:17], v[88:89]
	s_mov_b32 s39, 0xbe11bafb
	v_mov_b32_e32 v59, v91
	v_pk_mul_f32 v[92:93], v[76:77], s[38:39]
	s_mov_b32 s20, s39
	s_mov_b32 s21, s38
	;; [unrolled: 1-line block ×3, first 2 shown]
	v_pk_add_f32 v[56:57], v[58:59], v[56:57]
	v_pk_fma_f32 v[58:59], v[66:67], s[20:21], v[92:93] neg_lo:[0,0,1] neg_hi:[0,0,1]
	v_pk_fma_f32 v[94:95], v[66:67], s[20:21], v[92:93]
	s_mov_b32 s35, 0x3f575c64
	v_mov_b32_e32 v59, v95
	v_pk_mul_f32 v[96:97], v[78:79], s[34:35]
	s_mov_b32 s30, s35
	s_mov_b32 s31, s34
	v_pk_add_f32 v[56:57], v[58:59], v[56:57]
	v_pk_fma_f32 v[58:59], v[68:69], s[30:31], v[96:97] neg_lo:[0,0,1] neg_hi:[0,0,1]
	v_pk_fma_f32 v[98:99], v[68:69], s[30:31], v[96:97]
	s_mov_b32 s36, 0xbf7d64f0
	s_mov_b32 s37, s39
	v_mov_b32_e32 v59, v99
	v_pk_mul_f32 v[100:101], v[70:71], s[36:37]
	s_mov_b32 s18, s39
	s_mov_b32 s19, s36
	v_pk_add_f32 v[56:57], v[58:59], v[56:57]
	v_pk_fma_f32 v[58:59], v[60:61], s[18:19], v[100:101] neg_lo:[0,0,1] neg_hi:[0,0,1]
	v_pk_fma_f32 v[102:103], v[60:61], s[18:19], v[100:101]
	v_pk_mul_f32 v[106:107], v[72:73], s[22:23]
	v_mov_b32_e32 v59, v103
	v_pk_fma_f32 v[108:109], v[62:63], s[16:17], v[106:107] neg_lo:[0,0,1] neg_hi:[0,0,1]
	v_pk_fma_f32 v[104:105], v[62:63], s[16:17], v[106:107]
	v_pk_add_f32 v[58:59], v[28:29], v[58:59]
	v_mov_b32_e32 v109, v105
	s_mov_b32 s40, 0x3f68dda4
	s_mov_b32 s41, s45
	v_pk_add_f32 v[58:59], v[108:109], v[58:59]
	v_pk_mul_f32 v[108:109], v[74:75], s[40:41]
	s_mov_b32 s26, s45
	s_mov_b32 s27, s40
	v_pk_fma_f32 v[112:113], v[64:65], s[26:27], v[108:109] neg_lo:[0,0,1] neg_hi:[0,0,1]
	v_pk_fma_f32 v[110:111], v[64:65], s[26:27], v[108:109]
	s_mov_b32 s42, 0xbf0a6770
	v_mov_b32_e32 v113, v111
	s_mov_b32 s43, s35
	v_pk_add_f32 v[58:59], v[112:113], v[58:59]
	v_pk_mul_f32 v[112:113], v[76:77], s[42:43]
	s_mov_b32 s24, s35
	s_mov_b32 s25, s42
	v_pk_fma_f32 v[116:117], v[66:67], s[24:25], v[112:113] neg_lo:[0,0,1] neg_hi:[0,0,1]
	v_pk_fma_f32 v[114:115], v[66:67], s[24:25], v[112:113]
	v_pk_mul_f32 v[118:119], v[78:79], s[28:29]
	v_mov_b32_e32 v117, v115
	v_pk_add_f32 v[58:59], v[116:117], v[58:59]
	v_pk_fma_f32 v[122:123], v[68:69], s[14:15], v[118:119] neg_lo:[0,0,1] neg_hi:[0,0,1]
	v_pk_fma_f32 v[116:117], v[68:69], s[14:15], v[118:119]
	s_nop 0
	v_mov_b32_e32 v123, v117
	v_pk_add_f32 v[58:59], v[122:123], v[58:59]
	; wave barrier
	s_and_saveexec_b64 s[22:23], vcc
	s_cbranch_execz .LBB0_19
; %bb.18:
	v_pk_add_f32 v[30:31], v[30:31], v[28:29]
	v_pk_mul_f32 v[126:127], v[64:65], s[16:17]
	v_pk_add_f32 v[30:31], v[32:33], v[30:31]
	v_pk_mul_f32 v[32:33], v[70:71], s[42:43]
	v_pk_add_f32 v[30:31], v[34:35], v[30:31]
	v_pk_fma_f32 v[34:35], v[60:61], s[24:25], v[32:33]
	v_pk_add_f32 v[30:31], v[36:37], v[30:31]
	v_pk_fma_f32 v[36:37], v[60:61], s[24:25], v[32:33] neg_lo:[1,0,0] neg_hi:[1,0,0]
	v_pk_add_f32 v[30:31], v[38:39], v[30:31]
	v_pk_mul_f32 v[38:39], v[72:73], s[44:45]
	v_pk_add_f32 v[30:31], v[40:41], v[30:31]
	v_mov_b32_e32 v36, v34
	v_pk_add_f32 v[30:31], v[42:43], v[30:31]
	v_pk_fma_f32 v[40:41], v[62:63], s[10:11], v[38:39]
	v_pk_fma_f32 v[42:43], v[62:63], s[10:11], v[38:39] neg_lo:[1,0,0] neg_hi:[1,0,0]
	v_pk_add_f32 v[36:37], v[28:29], v[36:37]
	v_mov_b32_e32 v42, v40
	v_pk_add_f32 v[30:31], v[44:45], v[30:31]
	v_pk_add_f32 v[36:37], v[42:43], v[36:37]
	v_pk_mul_f32 v[42:43], v[74:75], s[36:37]
	v_pk_add_f32 v[30:31], v[46:47], v[30:31]
	v_pk_fma_f32 v[44:45], v[64:65], s[18:19], v[42:43]
	v_pk_fma_f32 v[46:47], v[64:65], s[18:19], v[42:43] neg_lo:[1,0,0] neg_hi:[1,0,0]
	v_pk_mul_f32 v[134:135], v[62:63], s[16:17]
	v_mov_b32_e32 v46, v44
	v_pk_add_f32 v[36:37], v[46:47], v[36:37]
	v_pk_mul_f32 v[46:47], v[76:77], s[28:29]
	v_pk_add_f32 v[30:31], v[52:53], v[30:31]
	v_pk_fma_f32 v[52:53], v[66:67], s[14:15], v[46:47]
	v_pk_fma_f32 v[142:143], v[66:67], s[14:15], v[46:47] neg_lo:[1,0,0] neg_hi:[1,0,0]
	s_mov_b32 s17, 0xbe903f40
	v_mov_b32_e32 v142, v52
	s_mov_b32 s44, s17
	s_mov_b32 s45, s16
	v_pk_add_f32 v[36:37], v[142:143], v[36:37]
	v_pk_mul_f32 v[142:143], v[78:79], s[44:45]
	v_pk_mul_f32 v[124:125], v[62:63], s[14:15]
	v_pk_fma_f32 v[144:145], v[68:69], s[16:17], v[142:143]
	v_pk_fma_f32 v[146:147], v[68:69], s[16:17], v[142:143] neg_lo:[1,0,0] neg_hi:[1,0,0]
	v_lshlrev_b32_e32 v49, 3, v120
	v_mov_b32_e32 v146, v144
	v_pk_add_f32 v[36:37], v[146:147], v[36:37]
	ds_write2_b64 v49, v[30:31], v[36:37] offset1:1
	v_pk_add_f32 v[36:37], v[84:85], v[124:125] neg_lo:[0,1] neg_hi:[0,1]
	v_pk_mul_f32 v[128:129], v[66:67], s[20:21]
	v_mov_b32_e32 v87, v37
	v_pk_add_f32 v[36:37], v[88:89], v[126:127] neg_lo:[0,1] neg_hi:[0,1]
	v_pk_mul_f32 v[130:131], v[68:69], s[30:31]
	v_mov_b32_e32 v91, v37
	v_pk_add_f32 v[36:37], v[92:93], v[128:129] neg_lo:[0,1] neg_hi:[0,1]
	v_pk_mul_f32 v[122:123], v[60:61], s[10:11]
	v_pk_mul_f32 v[132:133], v[60:61], s[18:19]
	v_mov_b32_e32 v95, v37
	v_pk_add_f32 v[36:37], v[96:97], v[130:131] neg_lo:[0,1] neg_hi:[0,1]
	v_pk_add_f32 v[30:31], v[80:81], v[122:123] neg_lo:[0,1] neg_hi:[0,1]
	v_mov_b32_e32 v99, v37
	v_pk_add_f32 v[36:37], v[100:101], v[132:133] neg_lo:[0,1] neg_hi:[0,1]
	v_pk_mul_f32 v[136:137], v[64:65], s[26:27]
	v_mov_b32_e32 v83, v31
	v_mov_b32_e32 v103, v37
	v_pk_add_f32 v[80:81], v[106:107], v[134:135] neg_lo:[0,1] neg_hi:[0,1]
	v_pk_mul_f32 v[138:139], v[66:67], s[24:25]
	v_pk_add_f32 v[30:31], v[28:29], v[82:83]
	v_pk_add_f32 v[36:37], v[28:29], v[102:103]
	v_mov_b32_e32 v105, v81
	v_pk_add_f32 v[80:81], v[108:109], v[136:137] neg_lo:[0,1] neg_hi:[0,1]
	v_pk_mul_f32 v[140:141], v[68:69], s[14:15]
	v_pk_add_f32 v[30:31], v[86:87], v[30:31]
	v_pk_add_f32 v[36:37], v[104:105], v[36:37]
	v_mov_b32_e32 v111, v81
	v_pk_add_f32 v[80:81], v[112:113], v[138:139] neg_lo:[0,1] neg_hi:[0,1]
	v_pk_add_f32 v[30:31], v[90:91], v[30:31]
	v_pk_add_f32 v[36:37], v[110:111], v[36:37]
	v_mov_b32_e32 v115, v81
	v_pk_add_f32 v[80:81], v[118:119], v[140:141] neg_lo:[0,1] neg_hi:[0,1]
	v_pk_add_f32 v[30:31], v[94:95], v[30:31]
	v_pk_add_f32 v[36:37], v[114:115], v[36:37]
	v_mov_b32_e32 v117, v81
	v_pk_add_f32 v[30:31], v[98:99], v[30:31]
	v_pk_add_f32 v[36:37], v[116:117], v[36:37]
	ds_write2_b64 v49, v[30:31], v[36:37] offset0:2 offset1:3
	v_pk_mul_f32 v[30:31], v[70:71], s[28:29]
	v_pk_mul_f32 v[82:83], v[72:73], s[38:39]
	v_pk_fma_f32 v[36:37], v[60:61], s[14:15], v[30:31]
	v_pk_fma_f32 v[80:81], v[60:61], s[14:15], v[30:31] neg_lo:[1,0,0] neg_hi:[1,0,0]
	v_pk_fma_f32 v[84:85], v[62:63], s[20:21], v[82:83]
	v_mov_b32_e32 v80, v36
	v_pk_fma_f32 v[86:87], v[62:63], s[20:21], v[82:83] neg_lo:[1,0,0] neg_hi:[1,0,0]
	v_pk_add_f32 v[80:81], v[28:29], v[80:81]
	v_mov_b32_e32 v86, v84
	v_pk_add_f32 v[80:81], v[86:87], v[80:81]
	v_pk_mul_f32 v[86:87], v[74:75], s[42:43]
	v_pk_mul_f32 v[70:71], v[70:71], s[44:45]
	v_pk_fma_f32 v[88:89], v[64:65], s[24:25], v[86:87]
	v_pk_fma_f32 v[90:91], v[64:65], s[24:25], v[86:87] neg_lo:[1,0,0] neg_hi:[1,0,0]
	v_pk_mul_f32 v[72:73], v[72:73], s[34:35]
	v_mov_b32_e32 v90, v88
	v_pk_add_f32 v[80:81], v[90:91], v[80:81]
	v_pk_mul_f32 v[90:91], v[76:77], s[44:45]
	v_pk_fma_f32 v[100:101], v[60:61], s[16:17], v[70:71] neg_lo:[1,0,0] neg_hi:[1,0,0]
	v_pk_fma_f32 v[92:93], v[66:67], s[16:17], v[90:91]
	v_pk_fma_f32 v[94:95], v[66:67], s[16:17], v[90:91] neg_lo:[1,0,0] neg_hi:[1,0,0]
	v_pk_fma_f32 v[30:31], v[60:61], s[14:15], v[30:31] neg_lo:[0,0,1] neg_hi:[0,0,1]
	v_mov_b32_e32 v94, v92
	v_pk_add_f32 v[80:81], v[94:95], v[80:81]
	v_pk_mul_f32 v[94:95], v[78:79], s[40:41]
	v_pk_fma_f32 v[102:103], v[62:63], s[30:31], v[72:73]
	v_pk_fma_f32 v[96:97], v[68:69], s[26:27], v[94:95]
	v_pk_fma_f32 v[98:99], v[68:69], s[26:27], v[94:95] neg_lo:[1,0,0] neg_hi:[1,0,0]
	v_pk_fma_f32 v[104:105], v[62:63], s[30:31], v[72:73] neg_lo:[1,0,0] neg_hi:[1,0,0]
	v_mov_b32_e32 v98, v96
	v_pk_add_f32 v[80:81], v[98:99], v[80:81]
	v_pk_fma_f32 v[98:99], v[60:61], s[16:17], v[70:71]
	v_pk_fma_f32 v[70:71], v[60:61], s[16:17], v[70:71] neg_lo:[0,0,1] neg_hi:[0,0,1]
	v_mov_b32_e32 v100, v98
	v_mov_b32_e32 v71, v99
	v_pk_fma_f32 v[72:73], v[62:63], s[30:31], v[72:73] neg_lo:[0,0,1] neg_hi:[0,0,1]
	v_mov_b32_e32 v31, v37
	v_pk_fma_f32 v[36:37], v[62:63], s[20:21], v[82:83] neg_lo:[0,0,1] neg_hi:[0,0,1]
	v_pk_mul_f32 v[74:75], v[74:75], s[28:29]
	v_pk_add_f32 v[100:101], v[28:29], v[100:101]
	v_mov_b32_e32 v104, v102
	v_pk_add_f32 v[70:71], v[28:29], v[70:71]
	v_mov_b32_e32 v73, v103
	;; [unrolled: 2-line block ×3, first 2 shown]
	v_pk_add_f32 v[100:101], v[104:105], v[100:101]
	v_pk_fma_f32 v[104:105], v[64:65], s[14:15], v[74:75]
	v_pk_fma_f32 v[106:107], v[64:65], s[14:15], v[74:75] neg_lo:[1,0,0] neg_hi:[1,0,0]
	v_pk_add_f32 v[70:71], v[72:73], v[70:71]
	v_pk_fma_f32 v[72:73], v[64:65], s[14:15], v[74:75] neg_lo:[0,0,1] neg_hi:[0,0,1]
	v_pk_add_f32 v[30:31], v[36:37], v[30:31]
	v_pk_fma_f32 v[36:37], v[64:65], s[24:25], v[86:87] neg_lo:[0,0,1] neg_hi:[0,0,1]
	v_pk_mul_f32 v[76:77], v[76:77], s[40:41]
	v_mov_b32_e32 v106, v104
	v_mov_b32_e32 v73, v105
	;; [unrolled: 1-line block ×3, first 2 shown]
	v_pk_add_f32 v[100:101], v[106:107], v[100:101]
	v_pk_fma_f32 v[106:107], v[66:67], s[26:27], v[76:77]
	v_pk_fma_f32 v[108:109], v[66:67], s[26:27], v[76:77] neg_lo:[1,0,0] neg_hi:[1,0,0]
	v_pk_add_f32 v[70:71], v[72:73], v[70:71]
	v_pk_fma_f32 v[72:73], v[66:67], s[26:27], v[76:77] neg_lo:[0,0,1] neg_hi:[0,0,1]
	v_pk_add_f32 v[30:31], v[36:37], v[30:31]
	v_pk_fma_f32 v[36:37], v[66:67], s[16:17], v[90:91] neg_lo:[0,0,1] neg_hi:[0,0,1]
	v_pk_mul_f32 v[78:79], v[78:79], s[36:37]
	v_mov_b32_e32 v108, v106
	v_mov_b32_e32 v73, v107
	;; [unrolled: 1-line block ×3, first 2 shown]
	v_pk_add_f32 v[100:101], v[108:109], v[100:101]
	v_pk_fma_f32 v[108:109], v[68:69], s[18:19], v[78:79]
	v_pk_fma_f32 v[110:111], v[68:69], s[18:19], v[78:79] neg_lo:[1,0,0] neg_hi:[1,0,0]
	v_pk_add_f32 v[70:71], v[72:73], v[70:71]
	v_pk_fma_f32 v[72:73], v[68:69], s[18:19], v[78:79] neg_lo:[0,0,1] neg_hi:[0,0,1]
	v_pk_add_f32 v[30:31], v[36:37], v[30:31]
	v_pk_fma_f32 v[36:37], v[68:69], s[26:27], v[94:95] neg_lo:[0,0,1] neg_hi:[0,0,1]
	v_mov_b32_e32 v110, v108
	v_mov_b32_e32 v73, v109
	;; [unrolled: 1-line block ×3, first 2 shown]
	v_pk_add_f32 v[100:101], v[110:111], v[100:101]
	v_pk_add_f32 v[70:71], v[72:73], v[70:71]
	;; [unrolled: 1-line block ×3, first 2 shown]
	ds_write2_b64 v49, v[80:81], v[100:101] offset0:4 offset1:5
	ds_write2_b64 v49, v[70:71], v[30:31] offset0:6 offset1:7
	ds_write2_b64 v49, v[58:59], v[56:57] offset0:8 offset1:9
	v_pk_fma_f32 v[30:31], v[60:61], s[24:25], v[32:33] neg_lo:[0,0,1] neg_hi:[0,0,1]
	s_nop 0
	v_mov_b32_e32 v31, v35
	v_pk_add_f32 v[28:29], v[28:29], v[30:31]
	v_pk_fma_f32 v[30:31], v[62:63], s[10:11], v[38:39] neg_lo:[0,0,1] neg_hi:[0,0,1]
	s_nop 0
	v_mov_b32_e32 v31, v41
	v_pk_add_f32 v[28:29], v[30:31], v[28:29]
	;; [unrolled: 4-line block ×5, first 2 shown]
	ds_write_b64 v49, v[28:29] offset:80
.LBB0_19:
	s_or_b64 exec, exec, s[22:23]
	v_add_u32_e32 v42, 0x400, v51
	s_waitcnt lgkmcnt(0)
	; wave barrier
	s_waitcnt lgkmcnt(0)
	ds_read2_b64 v[28:31], v42 offset0:92 offset1:147
	v_mov_b32_e32 v32, v3
	s_mov_b32 s10, 0x3f3504f3
	s_waitcnt lgkmcnt(0)
	v_pk_mul_f32 v[32:33], v[32:33], v[28:29] op_sel:[0,1] op_sel_hi:[1,0]
	v_pk_mul_f32 v[34:35], v[2:3], v[28:29] op_sel:[0,1] op_sel_hi:[1,0]
	v_pk_fma_f32 v[36:37], v[2:3], v[28:29], v[32:33]
	v_mov_b32_e32 v33, v34
	v_pk_fma_f32 v[2:3], v[2:3], v[28:29], v[32:33] op_sel:[0,1,0] op_sel_hi:[1,0,1] neg_lo:[1,0,0] neg_hi:[1,0,0]
	s_nop 0
	v_mov_b32_e32 v2, v9
	v_pk_mul_f32 v[28:29], v[2:3], v[30:31] op_sel:[0,1] op_sel_hi:[1,0]
	v_add_u32_e32 v2, 0x800, v51
	ds_read2_b64 v[32:35], v2 offset0:74 offset1:129
	v_pk_fma_f32 v[38:39], v[8:9], v[30:31], v[28:29]
	v_pk_mul_f32 v[28:29], v[8:9], v[30:31] op_sel:[0,1] op_sel_hi:[1,0]
	v_mov_b32_e32 v37, v3
	v_mov_b32_e32 v29, v28
	v_pk_fma_f32 v[8:9], v[8:9], v[30:31], v[28:29] op_sel:[0,1,0] op_sel_hi:[1,0,1] neg_lo:[1,0,0] neg_hi:[1,0,0]
	s_waitcnt lgkmcnt(0)
	v_pk_mul_f32 v[28:29], v[10:11], v[32:33]
	v_mov_b32_e32 v8, v11
	v_mov_b32_e32 v29, v28
	v_pk_fma_f32 v[40:41], v[10:11], v[32:33], v[28:29]
	ds_read2_b64 v[28:31], v51 offset1:55
	v_mov_b32_e32 v2, v33
	v_pk_mul_f32 v[32:33], v[8:9], v[32:33]
	v_mov_b32_e32 v39, v9
	v_pk_fma_f32 v[32:33], v[10:11], v[2:3], v[32:33] neg_lo:[0,0,1] neg_hi:[0,0,1]
	ds_read2_b64 v[8:11], v51 offset0:110 offset1:165
	s_waitcnt lgkmcnt(1)
	v_pk_add_f32 v[2:3], v[28:29], v[36:37] neg_lo:[0,1] neg_hi:[0,1]
	v_pk_mul_f32 v[36:37], v[4:5], v[30:31] op_sel:[1,0]
	v_mov_b32_e32 v33, v41
	v_pk_fma_f32 v[40:41], v[4:5], v[30:31], v[36:37] op_sel:[0,0,1] op_sel_hi:[1,1,0]
	v_pk_fma_f32 v[4:5], v[4:5], v[30:31], v[36:37] op_sel:[0,0,1] op_sel_hi:[0,1,0] neg_lo:[0,0,1] neg_hi:[0,0,1]
	v_mov_b32_e32 v41, v5
	s_waitcnt lgkmcnt(0)
	v_pk_mul_f32 v[4:5], v[6:7], v[8:9] op_sel:[1,0]
	s_nop 0
	v_pk_fma_f32 v[30:31], v[6:7], v[8:9], v[4:5] op_sel:[0,0,1] op_sel_hi:[1,1,0]
	v_pk_fma_f32 v[4:5], v[6:7], v[8:9], v[4:5] op_sel:[0,0,1] op_sel_hi:[0,1,0] neg_lo:[0,0,1] neg_hi:[0,0,1]
	v_pk_mul_f32 v[6:7], v[0:1], v[10:11] op_sel:[1,0]
	v_mov_b32_e32 v31, v5
	v_pk_fma_f32 v[8:9], v[0:1], v[10:11], v[6:7] op_sel:[0,0,1] op_sel_hi:[1,1,0]
	v_pk_fma_f32 v[0:1], v[0:1], v[10:11], v[6:7] op_sel:[0,0,1] op_sel_hi:[0,1,0] neg_lo:[0,0,1] neg_hi:[0,0,1]
	v_mov_b32_e32 v9, v1
	v_pk_mul_f32 v[0:1], v[54:55], v[34:35] op_sel:[1,0]
	v_mov_b32_e32 v4, v5
	v_pk_fma_f32 v[6:7], v[54:55], v[34:35], v[0:1] op_sel:[0,0,1] op_sel_hi:[1,1,0]
	v_pk_fma_f32 v[0:1], v[54:55], v[34:35], v[0:1] op_sel:[0,0,1] op_sel_hi:[0,1,0] neg_lo:[0,0,1] neg_hi:[0,0,1]
	v_mov_b32_e32 v7, v1
	v_mov_b32_e32 v5, v30
	v_pk_add_f32 v[0:1], v[8:9], v[6:7] neg_lo:[0,1] neg_hi:[0,1]
	v_pk_add_f32 v[4:5], v[4:5], v[32:33] neg_lo:[0,1] neg_hi:[0,1]
	v_pk_fma_f32 v[6:7], v[8:9], 2.0, v[0:1] op_sel_hi:[1,0,1] neg_lo:[0,0,1] neg_hi:[0,0,1]
	v_pk_fma_f32 v[8:9], v[28:29], 2.0, v[2:3] op_sel_hi:[1,0,1] neg_lo:[0,0,1] neg_hi:[0,0,1]
	v_pk_fma_f32 v[10:11], v[30:31], 2.0, v[4:5] op_sel:[0,0,1] op_sel_hi:[1,0,0] neg_lo:[0,0,1] neg_hi:[0,0,1]
	v_pk_add_f32 v[28:29], v[40:41], v[38:39] neg_lo:[0,1] neg_hi:[0,1]
	v_pk_add_f32 v[32:33], v[2:3], v[4:5]
	v_pk_add_f32 v[4:5], v[2:3], v[4:5] neg_lo:[0,1] neg_hi:[0,1]
	v_pk_fma_f32 v[30:31], v[40:41], 2.0, v[28:29] op_sel_hi:[1,0,1] neg_lo:[0,0,1] neg_hi:[0,0,1]
	v_mov_b32_e32 v33, v5
	v_pk_fma_f32 v[34:35], v[2:3], 2.0, v[32:33] op_sel_hi:[1,0,1] neg_lo:[0,0,1] neg_hi:[0,0,1]
	v_pk_add_f32 v[2:3], v[30:31], v[6:7] neg_lo:[0,1] neg_hi:[0,1]
	v_mov_b32_e32 v36, v28
	v_pk_fma_f32 v[6:7], v[30:31], 2.0, v[2:3] op_sel_hi:[1,0,1] neg_lo:[0,0,1] neg_hi:[0,0,1]
	v_mov_b32_e32 v30, v1
	v_mov_b32_e32 v31, v29
	;; [unrolled: 1-line block ×3, first 2 shown]
	v_pk_add_f32 v[38:39], v[30:31], v[36:37]
	v_pk_add_f32 v[30:31], v[30:31], v[36:37] neg_lo:[0,1] neg_hi:[0,1]
	v_pk_add_f32 v[10:11], v[8:9], v[10:11] neg_lo:[0,1] neg_hi:[0,1]
	v_mov_b32_e32 v39, v31
	v_pk_fma_f32 v[0:1], v[28:29], 2.0, v[38:39] op_sel_hi:[1,0,1] neg_lo:[0,0,1] neg_hi:[0,0,1]
	v_mov_b32_e32 v30, v32
	v_pk_mul_f32 v[28:29], v[0:1], s[10:11] op_sel_hi:[1,0]
	v_pk_fma_f32 v[36:37], v[0:1], s[10:11], v[34:35] op_sel_hi:[1,0,1] neg_lo:[1,0,0] neg_hi:[1,0,0]
	v_pk_fma_f32 v[8:9], v[8:9], 2.0, v[10:11] op_sel_hi:[1,0,1] neg_lo:[0,0,1] neg_hi:[0,0,1]
	v_pk_add_f32 v[0:1], v[36:37], v[28:29] op_sel:[0,1] op_sel_hi:[1,0]
	v_pk_add_f32 v[28:29], v[36:37], v[28:29] op_sel:[0,1] op_sel_hi:[1,0] neg_lo:[0,1] neg_hi:[0,1]
	v_fmac_f32_e32 v30, 0x3f3504f3, v38
	v_mov_b32_e32 v1, v29
	v_mul_f32_e32 v28, 0x3f3504f3, v31
	v_fmac_f32_e32 v5, 0x3f3504f3, v31
	v_mov_b32_e32 v29, v10
	v_mov_b32_e32 v31, v3
	v_pk_add_f32 v[6:7], v[8:9], v[6:7] neg_lo:[0,1] neg_hi:[0,1]
	v_mul_f32_e32 v4, 0x3f3504f3, v38
	v_pk_add_f32 v[28:29], v[28:29], v[30:31]
	v_mov_b32_e32 v30, v5
	v_mov_b32_e32 v31, v11
	;; [unrolled: 1-line block ×3, first 2 shown]
	v_pk_fma_f32 v[8:9], v[8:9], 2.0, v[6:7] op_sel_hi:[1,0,1] neg_lo:[0,0,1] neg_hi:[0,0,1]
	v_pk_add_f32 v[2:3], v[30:31], v[4:5] neg_lo:[0,1] neg_hi:[0,1]
	v_pk_fma_f32 v[4:5], v[34:35], 2.0, v[0:1] op_sel_hi:[1,0,1] neg_lo:[0,0,1] neg_hi:[0,0,1]
	; wave barrier
	ds_write2_b64 v121, v[8:9], v[4:5] offset1:11
	v_mov_b32_e32 v4, v29
	v_mov_b32_e32 v5, v3
	v_pk_fma_f32 v[8:9], v[10:11], 2.0, v[4:5] op_sel_hi:[1,0,1] neg_lo:[0,0,1] neg_hi:[0,0,1]
	v_mov_b32_e32 v10, v28
	v_mov_b32_e32 v11, v2
	v_pk_fma_f32 v[30:31], v[32:33], 2.0, v[10:11] op_sel_hi:[1,0,1] neg_lo:[0,0,1] neg_hi:[0,0,1]
	ds_write2_b64 v121, v[8:9], v[30:31] offset0:22 offset1:33
	ds_write2_b64 v121, v[6:7], v[0:1] offset0:44 offset1:55
	;; [unrolled: 1-line block ×3, first 2 shown]
	s_waitcnt lgkmcnt(0)
	; wave barrier
	s_waitcnt lgkmcnt(0)
	ds_read2_b64 v[4:7], v51 offset1:88
	ds_read2_b64 v[8:11], v42 offset0:48 offset1:136
	ds_read_b64 v[30:31], v51 offset:2816
	s_and_saveexec_b64 s[10:11], s[2:3]
	s_xor_b64 s[2:3], exec, s[10:11]
	s_or_saveexec_b64 s[2:3], s[2:3]
	v_mov_b32_e32 v36, v22
	v_mov_b32_e32 v37, v22
	;; [unrolled: 1-line block ×12, first 2 shown]
	s_xor_b64 exec, exec, s[2:3]
	s_cbranch_execz .LBB0_21
; %bb.20:
	ds_read2_b64 v[0:3], v51 offset0:55 offset1:143
	v_add_u32_e32 v28, 0x400, v51
	ds_read2_b64 v[40:43], v28 offset0:103 offset1:191
	ds_read_b64 v[56:57], v51 offset:3256
	s_waitcnt lgkmcnt(2)
	v_mov_b32_e32 v29, v2
	s_waitcnt lgkmcnt(1)
	v_mov_b32_e32 v28, v40
	v_mov_b32_e32 v2, v41
	v_mov_b64_e32 v[58:59], v[42:43]
.LBB0_21:
	s_or_b64 exec, exec, s[2:3]
	s_waitcnt lgkmcnt(2)
	v_pk_mul_f32 v[20:21], v[20:21], v[6:7]
	s_waitcnt lgkmcnt(1)
	v_pk_mul_f32 v[22:23], v[22:23], v[8:9]
	v_pk_fma_f32 v[40:41], v[38:39], v[6:7], v[20:21] op_sel:[0,0,1] op_sel_hi:[1,1,0]
	v_pk_fma_f32 v[6:7], v[38:39], v[6:7], v[20:21] op_sel:[0,0,1] op_sel_hi:[1,1,0] neg_lo:[0,0,1] neg_hi:[0,0,1]
	v_pk_mul_f32 v[24:25], v[24:25], v[10:11]
	v_mov_b32_e32 v41, v7
	v_pk_fma_f32 v[6:7], v[36:37], v[8:9], v[22:23] op_sel:[0,0,1] op_sel_hi:[1,1,0]
	v_pk_fma_f32 v[8:9], v[36:37], v[8:9], v[22:23] op_sel:[0,0,1] op_sel_hi:[1,1,0] neg_lo:[0,0,1] neg_hi:[0,0,1]
	s_waitcnt lgkmcnt(0)
	v_pk_mul_f32 v[26:27], v[26:27], v[30:31]
	v_mov_b32_e32 v7, v9
	v_pk_fma_f32 v[8:9], v[34:35], v[10:11], v[24:25] op_sel:[0,0,1] op_sel_hi:[1,1,0]
	v_pk_fma_f32 v[10:11], v[34:35], v[10:11], v[24:25] op_sel:[0,0,1] op_sel_hi:[1,1,0] neg_lo:[0,0,1] neg_hi:[0,0,1]
	v_pk_fma_f32 v[20:21], v[32:33], v[30:31], v[26:27] op_sel:[0,0,1] op_sel_hi:[1,1,0] neg_lo:[0,0,1] neg_hi:[0,0,1]
	v_mov_b32_e32 v9, v11
	v_pk_fma_f32 v[10:11], v[32:33], v[30:31], v[26:27] op_sel:[0,0,1] op_sel_hi:[1,1,0]
	v_pk_add_f32 v[22:23], v[6:7], v[8:9]
	v_mov_b32_e32 v11, v21
	v_pk_add_f32 v[24:25], v[40:41], v[10:11] neg_lo:[0,1] neg_hi:[0,1]
	s_mov_b32 s10, 0x3f737871
	v_pk_fma_f32 v[22:23], v[22:23], 0.5, v[4:5] op_sel_hi:[1,0,1] neg_lo:[1,0,0] neg_hi:[1,0,0]
	v_pk_mul_f32 v[26:27], v[24:25], s[10:11] op_sel_hi:[1,0]
	v_pk_add_f32 v[30:31], v[6:7], v[8:9] neg_lo:[0,1] neg_hi:[0,1]
	s_mov_b32 s14, 0x3f167918
	v_pk_add_f32 v[34:35], v[40:41], v[6:7] neg_lo:[0,1] neg_hi:[0,1]
	v_pk_add_f32 v[36:37], v[10:11], v[8:9] neg_lo:[0,1] neg_hi:[0,1]
	v_pk_add_f32 v[20:21], v[4:5], v[40:41]
	v_pk_mul_f32 v[32:33], v[30:31], s[14:15] op_sel_hi:[1,0]
	v_pk_add_f32 v[34:35], v[34:35], v[36:37]
	v_pk_add_f32 v[36:37], v[22:23], v[26:27] op_sel:[0,1] op_sel_hi:[1,0] neg_lo:[0,1] neg_hi:[0,1]
	v_pk_add_f32 v[22:23], v[22:23], v[26:27] op_sel:[0,1] op_sel_hi:[1,0]
	v_pk_add_f32 v[20:21], v[20:21], v[6:7]
	v_pk_add_f32 v[22:23], v[22:23], v[32:33] op_sel:[0,1] op_sel_hi:[1,0]
	v_pk_add_f32 v[26:27], v[36:37], v[32:33] op_sel:[0,1] op_sel_hi:[1,0] neg_lo:[0,1] neg_hi:[0,1]
	v_pk_add_f32 v[20:21], v[20:21], v[8:9]
	s_mov_b32 s2, 0x3e9e377a
	v_mov_b32_e32 v32, v26
	v_mov_b32_e32 v33, v23
	v_pk_add_f32 v[20:21], v[20:21], v[10:11]
	v_pk_fma_f32 v[32:33], v[34:35], s[2:3], v[32:33] op_sel_hi:[1,0,1]
	ds_write2_b64 v51, v[20:21], v[32:33] offset1:88
	v_pk_add_f32 v[20:21], v[40:41], v[10:11]
	v_pk_add_f32 v[6:7], v[6:7], v[40:41] neg_lo:[0,1] neg_hi:[0,1]
	v_pk_add_f32 v[8:9], v[8:9], v[10:11] neg_lo:[0,1] neg_hi:[0,1]
	v_pk_fma_f32 v[4:5], v[20:21], 0.5, v[4:5] op_sel_hi:[1,0,1] neg_lo:[1,0,0] neg_hi:[1,0,0]
	v_pk_add_f32 v[6:7], v[6:7], v[8:9]
	v_pk_mul_f32 v[8:9], v[30:31], s[10:11] op_sel_hi:[1,0]
	v_pk_mul_f32 v[10:11], v[24:25], s[14:15] op_sel_hi:[1,0]
	v_pk_add_f32 v[20:21], v[4:5], v[8:9] op_sel:[0,1] op_sel_hi:[1,0]
	v_pk_add_f32 v[4:5], v[4:5], v[8:9] op_sel:[0,1] op_sel_hi:[1,0] neg_lo:[0,1] neg_hi:[0,1]
	v_pk_add_f32 v[8:9], v[20:21], v[10:11] op_sel:[0,1] op_sel_hi:[1,0] neg_lo:[0,1] neg_hi:[0,1]
	v_pk_add_f32 v[4:5], v[4:5], v[10:11] op_sel:[0,1] op_sel_hi:[1,0]
	v_mov_b32_e32 v10, v8
	v_mov_b32_e32 v11, v5
	;; [unrolled: 1-line block ×3, first 2 shown]
	v_pk_fma_f32 v[10:11], v[6:7], s[2:3], v[10:11] op_sel_hi:[1,0,1]
	v_pk_fma_f32 v[6:7], v[6:7], s[2:3], v[4:5] op_sel_hi:[1,0,1]
	v_add_u32_e32 v4, 0x400, v51
	v_mov_b32_e32 v23, v27
	ds_write2_b64 v4, v[10:11], v[6:7] offset0:48 offset1:136
	v_pk_fma_f32 v[6:7], v[34:35], s[2:3], v[22:23] op_sel_hi:[1,0,1]
	ds_write_b64 v51, v[6:7] offset:2816
	s_and_saveexec_b64 s[16:17], s[0:1]
	s_cbranch_execz .LBB0_23
; %bb.22:
	v_pk_mul_f32 v[6:7], v[16:17], v[2:3] op_sel:[0,1]
	v_pk_mul_f32 v[2:3], v[18:19], v[2:3] op_sel_hi:[1,0]
	v_pk_mul_f32 v[10:11], v[12:13], v[58:59] op_sel:[0,1]
	v_pk_fma_f32 v[20:21], v[18:19], v[28:29], v[2:3] op_sel:[0,0,1] op_sel_hi:[1,1,0]
	v_pk_fma_f32 v[2:3], v[18:19], v[28:29], v[2:3] op_sel:[0,0,1] op_sel_hi:[1,0,0] neg_lo:[1,0,0] neg_hi:[1,0,0]
	v_pk_mul_f32 v[8:9], v[14:15], v[56:57] op_sel:[0,1]
	v_mov_b32_e32 v21, v3
	v_pk_fma_f32 v[2:3], v[16:17], v[28:29], v[6:7] op_sel:[0,1,1] op_sel_hi:[1,1,0]
	v_pk_fma_f32 v[6:7], v[16:17], v[28:29], v[6:7] op_sel:[0,1,1] op_sel_hi:[1,1,0] neg_lo:[1,0,0] neg_hi:[1,0,0]
	s_nop 0
	v_mov_b32_e32 v3, v7
	v_pk_fma_f32 v[6:7], v[12:13], v[58:59], v[10:11] op_sel:[0,0,1] op_sel_hi:[1,1,0]
	v_pk_fma_f32 v[10:11], v[12:13], v[58:59], v[10:11] op_sel:[0,0,1] op_sel_hi:[1,0,0] neg_lo:[1,0,0] neg_hi:[1,0,0]
	v_pk_add_f32 v[12:13], v[2:3], v[20:21] neg_lo:[0,1] neg_hi:[0,1]
	v_mov_b32_e32 v7, v11
	v_pk_fma_f32 v[10:11], v[14:15], v[56:57], v[8:9] op_sel:[0,0,1] op_sel_hi:[1,1,0]
	v_pk_fma_f32 v[8:9], v[14:15], v[56:57], v[8:9] op_sel:[0,0,1] op_sel_hi:[1,0,0] neg_lo:[1,0,0] neg_hi:[1,0,0]
	s_nop 0
	v_mov_b32_e32 v11, v9
	v_pk_add_f32 v[14:15], v[10:11], v[6:7] neg_lo:[0,1] neg_hi:[0,1]
	v_pk_add_f32 v[16:17], v[2:3], v[10:11] neg_lo:[0,1] neg_hi:[0,1]
	v_pk_add_f32 v[12:13], v[14:15], v[12:13]
	v_pk_add_f32 v[14:15], v[20:21], v[6:7]
	v_pk_mul_f32 v[18:19], v[16:17], s[10:11] op_sel_hi:[1,0]
	v_pk_fma_f32 v[14:15], v[14:15], 0.5, v[0:1] op_sel_hi:[1,0,1] neg_lo:[1,0,0] neg_hi:[1,0,0]
	v_pk_add_f32 v[8:9], v[0:1], v[2:3]
	v_pk_add_f32 v[22:23], v[14:15], v[18:19] op_sel:[0,1] op_sel_hi:[1,0] neg_lo:[0,1] neg_hi:[0,1]
	v_pk_add_f32 v[14:15], v[14:15], v[18:19] op_sel:[0,1] op_sel_hi:[1,0]
	v_pk_add_f32 v[18:19], v[20:21], v[6:7] neg_lo:[0,1] neg_hi:[0,1]
	v_pk_add_f32 v[8:9], v[20:21], v[8:9]
	v_pk_mul_f32 v[24:25], v[18:19], s[14:15] op_sel_hi:[1,0]
	v_pk_add_f32 v[8:9], v[6:7], v[8:9]
	v_pk_add_f32 v[14:15], v[14:15], v[24:25] op_sel:[0,1] op_sel_hi:[1,0]
	v_pk_add_f32 v[22:23], v[22:23], v[24:25] op_sel:[0,1] op_sel_hi:[1,0] neg_lo:[0,1] neg_hi:[0,1]
	v_mov_b32_e32 v25, v15
	v_mov_b32_e32 v24, v22
	v_pk_add_f32 v[8:9], v[10:11], v[8:9]
	v_pk_fma_f32 v[24:25], v[12:13], s[2:3], v[24:25] op_sel_hi:[1,0,1]
	ds_write2_b64 v51, v[8:9], v[24:25] offset0:55 offset1:143
	v_pk_add_f32 v[8:9], v[20:21], v[2:3] neg_lo:[0,1] neg_hi:[0,1]
	v_pk_add_f32 v[2:3], v[10:11], v[2:3]
	v_pk_add_f32 v[6:7], v[6:7], v[10:11] neg_lo:[0,1] neg_hi:[0,1]
	v_pk_fma_f32 v[0:1], v[2:3], 0.5, v[0:1] op_sel_hi:[1,0,1] neg_lo:[1,0,0] neg_hi:[1,0,0]
	v_pk_mul_f32 v[2:3], v[18:19], s[10:11] op_sel_hi:[1,0]
	v_pk_add_f32 v[6:7], v[6:7], v[8:9]
	v_pk_mul_f32 v[8:9], v[16:17], s[14:15] op_sel_hi:[1,0]
	v_pk_add_f32 v[10:11], v[0:1], v[2:3] op_sel:[0,1] op_sel_hi:[1,0]
	v_pk_add_f32 v[0:1], v[0:1], v[2:3] op_sel:[0,1] op_sel_hi:[1,0] neg_lo:[0,1] neg_hi:[0,1]
	v_pk_add_f32 v[2:3], v[10:11], v[8:9] op_sel:[0,1] op_sel_hi:[1,0] neg_lo:[0,1] neg_hi:[0,1]
	v_pk_add_f32 v[0:1], v[0:1], v[8:9] op_sel:[0,1] op_sel_hi:[1,0]
	v_mov_b32_e32 v8, v2
	v_mov_b32_e32 v9, v1
	;; [unrolled: 1-line block ×3, first 2 shown]
	v_pk_fma_f32 v[8:9], v[6:7], s[2:3], v[8:9] op_sel_hi:[1,0,1]
	v_pk_fma_f32 v[0:1], v[6:7], s[2:3], v[0:1] op_sel_hi:[1,0,1]
	v_mov_b32_e32 v15, v23
	ds_write2_b64 v4, v[8:9], v[0:1] offset0:103 offset1:191
	v_pk_fma_f32 v[0:1], v[12:13], s[2:3], v[14:15] op_sel_hi:[1,0,1]
	ds_write_b64 v51, v[0:1] offset:3256
.LBB0_23:
	s_or_b64 exec, exec, s[16:17]
	s_waitcnt lgkmcnt(0)
	; wave barrier
	s_waitcnt lgkmcnt(0)
	s_and_b64 exec, exec, vcc
	s_cbranch_execz .LBB0_25
; %bb.24:
	global_load_dwordx2 v[8:9], v51, s[8:9]
	global_load_dwordx2 v[10:11], v51, s[8:9] offset:320
	global_load_dwordx2 v[12:13], v51, s[8:9] offset:640
	;; [unrolled: 1-line block ×4, first 2 shown]
	ds_read_b64 v[18:19], v51
	ds_read2_b64 v[0:3], v51 offset0:40 offset1:80
	ds_read2_b64 v[4:7], v51 offset0:120 offset1:160
	global_load_dwordx2 v[26:27], v51, s[8:9] offset:1600
	global_load_dwordx2 v[28:29], v51, s[8:9] offset:1920
	v_mad_u64_u32 v[22:23], s[0:1], s6, v50, 0
	v_mad_u64_u32 v[24:25], s[2:3], s4, v48, 0
	v_mov_b32_e32 v30, v23
	v_mov_b32_e32 v32, v25
	v_mad_u64_u32 v[30:31], s[6:7], s7, v50, v[30:31]
	v_mov_b32_e32 v20, s12
	v_mov_b32_e32 v21, s13
	;; [unrolled: 3-line block ×3, first 2 shown]
	v_lshl_add_u64 v[20:21], v[22:23], 3, v[20:21]
	v_mov_b32_e32 v38, 0x140
	v_lshl_add_u64 v[22:23], v[24:25], 3, v[20:21]
	s_mul_i32 s2, s5, 0x140
	v_mad_u64_u32 v[24:25], s[6:7], s4, v38, v[22:23]
	s_mov_b32 s0, 0x29e4129e
	v_add_u32_e32 v25, s2, v25
	s_mov_b32 s1, 0x3f629e41
	v_mad_u64_u32 v[30:31], s[6:7], s4, v38, v[24:25]
	v_add_u32_e32 v31, s2, v31
	v_mad_u64_u32 v[32:33], s[6:7], s4, v38, v[30:31]
	v_add_u32_e32 v33, s2, v33
	s_mul_i32 s3, s5, 0x280
	s_waitcnt vmcnt(6) lgkmcnt(2)
	v_mul_f32_e32 v34, v19, v9
	v_mul_f32_e32 v9, v18, v9
	v_fmac_f32_e32 v34, v18, v8
	v_fma_f32 v18, v8, v19, -v9
	global_load_dwordx2 v[8:9], v51, s[8:9] offset:2240
	s_waitcnt vmcnt(5) lgkmcnt(1)
	v_mul_f32_e32 v36, v3, v13
	v_mul_f32_e32 v13, v2, v13
	s_waitcnt vmcnt(4) lgkmcnt(0)
	v_mul_f32_e32 v37, v5, v15
	v_mul_f32_e32 v15, v4, v15
	v_fmac_f32_e32 v36, v2, v12
	v_fma_f32 v19, v12, v3, -v13
	v_fmac_f32_e32 v37, v4, v14
	v_fma_f32 v40, v14, v5, -v15
	v_cvt_f64_f32_e32 v[2:3], v18
	v_cvt_f64_f32_e32 v[12:13], v36
	;; [unrolled: 1-line block ×4, first 2 shown]
	global_load_dwordx2 v[36:37], v51, s[8:9] offset:2560
	v_mul_f32_e32 v35, v1, v11
	v_mul_f32_e32 v11, v0, v11
	v_fmac_f32_e32 v35, v0, v10
	v_fma_f32 v10, v10, v1, -v11
	v_cvt_f64_f32_e32 v[0:1], v34
	s_waitcnt vmcnt(4)
	v_mul_f32_e32 v39, v7, v17
	v_cvt_f64_f32_e32 v[4:5], v35
	v_cvt_f64_f32_e32 v[10:11], v10
	;; [unrolled: 1-line block ×3, first 2 shown]
	v_mul_f64 v[0:1], v[0:1], s[0:1]
	v_mul_f64 v[2:3], v[2:3], s[0:1]
	;; [unrolled: 1-line block ×8, first 2 shown]
	v_cvt_f32_f64_e32 v0, v[0:1]
	v_cvt_f32_f64_e32 v1, v[2:3]
	v_fmac_f32_e32 v39, v6, v16
	v_cvt_f32_f64_e32 v2, v[4:5]
	v_cvt_f32_f64_e32 v3, v[10:11]
	;; [unrolled: 1-line block ×6, first 2 shown]
	global_store_dwordx2 v[22:23], v[0:1], off
	global_store_dwordx2 v[24:25], v[2:3], off
	;; [unrolled: 1-line block ×4, first 2 shown]
	v_cvt_f64_f32_e32 v[0:1], v39
	v_mul_f64 v[0:1], v[0:1], s[0:1]
	v_cvt_f32_f64_e32 v10, v[0:1]
	v_mul_f32_e32 v0, v6, v17
	global_load_dwordx2 v[4:5], v51, s[8:9] offset:2880
	v_fma_f32 v0, v16, v7, -v0
	v_cvt_f64_f32_e32 v[0:1], v0
	v_mul_f64 v[0:1], v[0:1], s[0:1]
	v_mad_u64_u32 v[6:7], s[6:7], s4, v38, v[32:33]
	v_cvt_f32_f64_e32 v11, v[0:1]
	v_add_u32_e32 v7, s2, v7
	global_store_dwordx2 v[6:7], v[10:11], off
	global_load_dwordx2 v[10:11], v51, s[8:9] offset:3200
	ds_read2_b64 v[0:3], v51 offset0:200 offset1:240
	v_mad_u64_u32 v[6:7], s[6:7], s4, v38, v[6:7]
	v_add_u32_e32 v7, s2, v7
	v_add_u32_e32 v15, 0x800, v51
	s_waitcnt vmcnt(10) lgkmcnt(0)
	v_mul_f32_e32 v12, v1, v27
	v_fmac_f32_e32 v12, v0, v26
	v_mul_f32_e32 v0, v0, v27
	v_fma_f32 v0, v26, v1, -v0
	v_cvt_f64_f32_e32 v[12:13], v12
	v_cvt_f64_f32_e32 v[0:1], v0
	v_mul_f64 v[12:13], v[12:13], s[0:1]
	v_mul_f64 v[0:1], v[0:1], s[0:1]
	v_cvt_f32_f64_e32 v12, v[12:13]
	v_cvt_f32_f64_e32 v13, v[0:1]
	s_waitcnt vmcnt(9)
	v_mul_f32_e32 v0, v3, v29
	v_fmac_f32_e32 v0, v2, v28
	v_cvt_f64_f32_e32 v[0:1], v0
	v_mul_f64 v[0:1], v[0:1], s[0:1]
	global_store_dwordx2 v[6:7], v[12:13], off
	v_cvt_f32_f64_e32 v12, v[0:1]
	v_mul_f32_e32 v0, v2, v29
	v_fma_f32 v0, v28, v3, -v0
	v_cvt_f64_f32_e32 v[0:1], v0
	v_mul_f64 v[0:1], v[0:1], s[0:1]
	v_cvt_f32_f64_e32 v13, v[0:1]
	ds_read2_b64 v[0:3], v15 offset0:24 offset1:64
	v_mad_u64_u32 v[6:7], s[6:7], s4, v38, v[6:7]
	v_add_u32_e32 v7, s2, v7
	global_store_dwordx2 v[6:7], v[12:13], off
	s_waitcnt vmcnt(10) lgkmcnt(0)
	v_mul_f32_e32 v12, v1, v9
	v_fmac_f32_e32 v12, v0, v8
	v_mul_f32_e32 v0, v0, v9
	v_fma_f32 v0, v8, v1, -v0
	v_cvt_f64_f32_e32 v[12:13], v12
	v_cvt_f64_f32_e32 v[0:1], v0
	v_mul_f64 v[12:13], v[12:13], s[0:1]
	v_mul_f64 v[0:1], v[0:1], s[0:1]
	v_cvt_f32_f64_e32 v12, v[12:13]
	v_cvt_f32_f64_e32 v13, v[0:1]
	s_waitcnt vmcnt(9)
	v_mul_f32_e32 v0, v3, v37
	v_fmac_f32_e32 v0, v2, v36
	v_cvt_f64_f32_e32 v[0:1], v0
	v_mul_f64 v[0:1], v[0:1], s[0:1]
	v_cvt_f32_f64_e32 v8, v[0:1]
	v_mul_f32_e32 v0, v2, v37
	v_fma_f32 v0, v36, v3, -v0
	v_mad_u64_u32 v[6:7], s[6:7], s4, v38, v[6:7]
	v_cvt_f64_f32_e32 v[0:1], v0
	v_add_u32_e32 v7, s2, v7
	v_or_b32_e32 v16, 0x140, v48
	v_mul_f64 v[0:1], v[0:1], s[0:1]
	global_store_dwordx2 v[6:7], v[12:13], off
	v_cvt_f32_f64_e32 v9, v[0:1]
	v_mad_u64_u32 v[12:13], s[6:7], s4, v16, 0
	ds_read2_b64 v[0:3], v15 offset0:104 offset1:144
	v_mov_b32_e32 v14, v13
	v_mad_u64_u32 v[14:15], s[6:7], s5, v16, v[14:15]
	v_mov_b32_e32 v13, v14
	v_lshl_add_u64 v[12:13], v[12:13], 3, v[20:21]
	global_store_dwordx2 v[12:13], v[8:9], off
	s_waitcnt vmcnt(6) lgkmcnt(0)
	v_mul_f32_e32 v8, v1, v5
	v_fmac_f32_e32 v8, v0, v4
	v_mul_f32_e32 v0, v0, v5
	v_fma_f32 v0, v4, v1, -v0
	v_cvt_f64_f32_e32 v[8:9], v8
	v_cvt_f64_f32_e32 v[0:1], v0
	v_mul_f64 v[8:9], v[8:9], s[0:1]
	v_mul_f64 v[0:1], v[0:1], s[0:1]
	v_cvt_f32_f64_e32 v8, v[8:9]
	s_waitcnt vmcnt(4)
	v_mul_f32_e32 v4, v3, v11
	v_cvt_f32_f64_e32 v9, v[0:1]
	v_mov_b32_e32 v0, 0x280
	v_fmac_f32_e32 v4, v2, v10
	v_mul_f32_e32 v2, v2, v11
	v_mad_u64_u32 v[0:1], s[6:7], s4, v0, v[6:7]
	v_fma_f32 v2, v10, v3, -v2
	v_add_u32_e32 v1, s3, v1
	v_cvt_f64_f32_e32 v[4:5], v4
	v_cvt_f64_f32_e32 v[2:3], v2
	global_store_dwordx2 v[0:1], v[8:9], off
	v_mul_f64 v[4:5], v[4:5], s[0:1]
	v_mul_f64 v[2:3], v[2:3], s[0:1]
	v_mad_u64_u32 v[0:1], s[0:1], s4, v38, v[0:1]
	v_cvt_f32_f64_e32 v4, v[4:5]
	v_cvt_f32_f64_e32 v5, v[2:3]
	v_add_u32_e32 v1, s2, v1
	global_store_dwordx2 v[0:1], v[4:5], off
.LBB0_25:
	s_endpgm
	.section	.rodata,"a",@progbits
	.p2align	6, 0x0
	.amdhsa_kernel bluestein_single_back_len440_dim1_sp_op_CI_CI
		.amdhsa_group_segment_fixed_size 3520
		.amdhsa_private_segment_fixed_size 0
		.amdhsa_kernarg_size 104
		.amdhsa_user_sgpr_count 2
		.amdhsa_user_sgpr_dispatch_ptr 0
		.amdhsa_user_sgpr_queue_ptr 0
		.amdhsa_user_sgpr_kernarg_segment_ptr 1
		.amdhsa_user_sgpr_dispatch_id 0
		.amdhsa_user_sgpr_kernarg_preload_length 0
		.amdhsa_user_sgpr_kernarg_preload_offset 0
		.amdhsa_user_sgpr_private_segment_size 0
		.amdhsa_uses_dynamic_stack 0
		.amdhsa_enable_private_segment 0
		.amdhsa_system_sgpr_workgroup_id_x 1
		.amdhsa_system_sgpr_workgroup_id_y 0
		.amdhsa_system_sgpr_workgroup_id_z 0
		.amdhsa_system_sgpr_workgroup_info 0
		.amdhsa_system_vgpr_workitem_id 0
		.amdhsa_next_free_vgpr 148
		.amdhsa_next_free_sgpr 46
		.amdhsa_accum_offset 148
		.amdhsa_reserve_vcc 1
		.amdhsa_float_round_mode_32 0
		.amdhsa_float_round_mode_16_64 0
		.amdhsa_float_denorm_mode_32 3
		.amdhsa_float_denorm_mode_16_64 3
		.amdhsa_dx10_clamp 1
		.amdhsa_ieee_mode 1
		.amdhsa_fp16_overflow 0
		.amdhsa_tg_split 0
		.amdhsa_exception_fp_ieee_invalid_op 0
		.amdhsa_exception_fp_denorm_src 0
		.amdhsa_exception_fp_ieee_div_zero 0
		.amdhsa_exception_fp_ieee_overflow 0
		.amdhsa_exception_fp_ieee_underflow 0
		.amdhsa_exception_fp_ieee_inexact 0
		.amdhsa_exception_int_div_zero 0
	.end_amdhsa_kernel
	.text
.Lfunc_end0:
	.size	bluestein_single_back_len440_dim1_sp_op_CI_CI, .Lfunc_end0-bluestein_single_back_len440_dim1_sp_op_CI_CI
                                        ; -- End function
	.section	.AMDGPU.csdata,"",@progbits
; Kernel info:
; codeLenInByte = 10120
; NumSgprs: 52
; NumVgprs: 148
; NumAgprs: 0
; TotalNumVgprs: 148
; ScratchSize: 0
; MemoryBound: 0
; FloatMode: 240
; IeeeMode: 1
; LDSByteSize: 3520 bytes/workgroup (compile time only)
; SGPRBlocks: 6
; VGPRBlocks: 18
; NumSGPRsForWavesPerEU: 52
; NumVGPRsForWavesPerEU: 148
; AccumOffset: 148
; Occupancy: 3
; WaveLimiterHint : 1
; COMPUTE_PGM_RSRC2:SCRATCH_EN: 0
; COMPUTE_PGM_RSRC2:USER_SGPR: 2
; COMPUTE_PGM_RSRC2:TRAP_HANDLER: 0
; COMPUTE_PGM_RSRC2:TGID_X_EN: 1
; COMPUTE_PGM_RSRC2:TGID_Y_EN: 0
; COMPUTE_PGM_RSRC2:TGID_Z_EN: 0
; COMPUTE_PGM_RSRC2:TIDIG_COMP_CNT: 0
; COMPUTE_PGM_RSRC3_GFX90A:ACCUM_OFFSET: 36
; COMPUTE_PGM_RSRC3_GFX90A:TG_SPLIT: 0
	.text
	.p2alignl 6, 3212836864
	.fill 256, 4, 3212836864
	.type	__hip_cuid_33c68fc8b17c2f22,@object ; @__hip_cuid_33c68fc8b17c2f22
	.section	.bss,"aw",@nobits
	.globl	__hip_cuid_33c68fc8b17c2f22
__hip_cuid_33c68fc8b17c2f22:
	.byte	0                               ; 0x0
	.size	__hip_cuid_33c68fc8b17c2f22, 1

	.ident	"AMD clang version 19.0.0git (https://github.com/RadeonOpenCompute/llvm-project roc-6.4.0 25133 c7fe45cf4b819c5991fe208aaa96edf142730f1d)"
	.section	".note.GNU-stack","",@progbits
	.addrsig
	.addrsig_sym __hip_cuid_33c68fc8b17c2f22
	.amdgpu_metadata
---
amdhsa.kernels:
  - .agpr_count:     0
    .args:
      - .actual_access:  read_only
        .address_space:  global
        .offset:         0
        .size:           8
        .value_kind:     global_buffer
      - .actual_access:  read_only
        .address_space:  global
        .offset:         8
        .size:           8
        .value_kind:     global_buffer
      - .actual_access:  read_only
        .address_space:  global
        .offset:         16
        .size:           8
        .value_kind:     global_buffer
      - .actual_access:  read_only
        .address_space:  global
        .offset:         24
        .size:           8
        .value_kind:     global_buffer
      - .actual_access:  read_only
        .address_space:  global
        .offset:         32
        .size:           8
        .value_kind:     global_buffer
      - .offset:         40
        .size:           8
        .value_kind:     by_value
      - .address_space:  global
        .offset:         48
        .size:           8
        .value_kind:     global_buffer
      - .address_space:  global
        .offset:         56
        .size:           8
        .value_kind:     global_buffer
      - .address_space:  global
        .offset:         64
        .size:           8
        .value_kind:     global_buffer
      - .address_space:  global
        .offset:         72
        .size:           8
        .value_kind:     global_buffer
      - .offset:         80
        .size:           4
        .value_kind:     by_value
      - .address_space:  global
        .offset:         88
        .size:           8
        .value_kind:     global_buffer
      - .address_space:  global
        .offset:         96
        .size:           8
        .value_kind:     global_buffer
    .group_segment_fixed_size: 3520
    .kernarg_segment_align: 8
    .kernarg_segment_size: 104
    .language:       OpenCL C
    .language_version:
      - 2
      - 0
    .max_flat_workgroup_size: 55
    .name:           bluestein_single_back_len440_dim1_sp_op_CI_CI
    .private_segment_fixed_size: 0
    .sgpr_count:     52
    .sgpr_spill_count: 0
    .symbol:         bluestein_single_back_len440_dim1_sp_op_CI_CI.kd
    .uniform_work_group_size: 1
    .uses_dynamic_stack: false
    .vgpr_count:     148
    .vgpr_spill_count: 0
    .wavefront_size: 64
amdhsa.target:   amdgcn-amd-amdhsa--gfx950
amdhsa.version:
  - 1
  - 2
...

	.end_amdgpu_metadata
